;; amdgpu-corpus repo=ROCm/aiter kind=harvested arch=n/a opt=n/a

/root/src/amdgpu-assembly/repos/ROCm__aiter/hsa/gfx942/fmoe_int4fp8_g1u1_subGU_256_gelu.co:	file format elf64-amdgpu

Disassembly of section .text:

0000000000002b00 <fmoe_int4fp8_g1u1_subGU_256_gelu>:
	s_and_b32 s1, s1, 0xffff                                   // 000000002B00: 8601FF01 0000FFFF
	s_load_dwordx2 s[8:9], s[0:1], 0x0                         // 000000002B08: C0060200 00000000
	s_load_dwordx2 s[20:21], s[0:1], 0x10                      // 000000002B10: C0060500 00000010
	s_load_dwordx2 s[24:25], s[0:1], 0x20                      // 000000002B18: C0060600 00000020
	s_load_dwordx2 s[50:51], s[0:1], 0x30                      // 000000002B20: C0060C80 00000030
	s_load_dwordx2 s[12:13], s[0:1], 0x40                      // 000000002B28: C0060300 00000040
	s_load_dwordx2 s[28:29], s[0:1], 0x50                      // 000000002B30: C0060700 00000050
	s_load_dwordx2 s[32:33], s[0:1], 0x60                      // 000000002B38: C0060800 00000060
	s_load_dwordx2 s[16:17], s[0:1], 0x70                      // 000000002B40: C0060400 00000070
	s_load_dwordx2 s[36:37], s[0:1], 0x80                      // 000000002B48: C0060900 00000080
	s_load_dwordx2 s[44:45], s[0:1], 0x90                      // 000000002B50: C0060B00 00000090
	s_load_dwordx2 s[40:41], s[0:1], 0xa0                      // 000000002B58: C0060A00 000000A0
	s_load_dwordx2 s[46:47], s[0:1], 0xb0                      // 000000002B60: C0060B80 000000B0
	s_load_dword s64, s[0:1], 0xc0                             // 000000002B68: C0021000 000000C0
	s_load_dword s65, s[0:1], 0xd0                             // 000000002B70: C0021040 000000D0
	s_load_dword s66, s[0:1], 0xe0                             // 000000002B78: C0021080 000000E0
	s_load_dword s67, s[0:1], 0xf0                             // 000000002B80: C00210C0 000000F0
	s_load_dword s68, s[0:1], 0x100                            // 000000002B88: C0021100 00000100
	s_load_dword s69, s[0:1], 0x110                            // 000000002B90: C0021140 00000110
	s_load_dword s70, s[0:1], 0x120                            // 000000002B98: C0021180 00000120
	s_load_dword s71, s[0:1], 0x130                            // 000000002BA0: C00211C0 00000130
	s_load_dword s72, s[0:1], 0x140                            // 000000002BA8: C0021200 00000140
	s_load_dword s73, s[0:1], 0x150                            // 000000002BB0: C0021240 00000150
	s_load_dword s74, s[0:1], 0x160                            // 000000002BB8: C0021280 00000160
	s_load_dword s75, s[0:1], 0x170                            // 000000002BC0: C00212C0 00000170
	s_load_dword s76, s[0:1], 0x180                            // 000000002BC8: C0021300 00000180
	v_lshrrev_b32_e32 v1, 10, v0                               // 000000002BD0: 2002008A
	v_lshrrev_b32_e32 v2, 10, v1                               // 000000002BD4: 2004028A
	v_and_b32_e32 v2, 0x3ff, v2                                // 000000002BD8: 260404FF 000003FF
	v_and_b32_e32 v1, 0x3ff, v1                                // 000000002BE0: 260202FF 000003FF
	v_and_b32_e32 v0, 0x3ff, v0                                // 000000002BE8: 260000FF 000003FF
	v_lshrrev_b32_e32 v3, 6, v0                                // 000000002BF0: 20060086
	v_and_b32_e32 v0, 63, v0                                   // 000000002BF4: 260000BF
	s_mov_b32 s2, s2                                           // 000000002BF8: BE820002
	s_mov_b32 s3, s3                                           // 000000002BFC: BE830003
	s_mov_b32 s4, s4                                           // 000000002C00: BE840004
	v_readfirstlane_b32 s7, v3                                 // 000000002C04: 7E0E0503
	s_waitcnt lgkmcnt(0)                                       // 000000002C08: BF8CC07F
	s_and_b32 s51, s51, 0xffff                                 // 000000002C0C: 8633FF33 0000FFFF
	s_load_dword s50, s[50:51], 0x0                            // 000000002C14: C0020C99 00000000
	s_and_b32 s45, s45, 0xffff                                 // 000000002C1C: 862DFF2D 0000FFFF
	s_and_b32 s47, s47, 0xffff                                 // 000000002C24: 862FFF2F 0000FFFF
	s_and_b32 s9, s9, 0xffff                                   // 000000002C2C: 8609FF09 0000FFFF
	s_mul_i32 s60, s66, s68                                    // 000000002C34: 923C4442
	s_mul_i32 s61, s66, 4                                      // 000000002C38: 923D8442
	s_mov_b32 s22, s60                                         // 000000002C3C: BE96003C
	s_mov_b32 s26, 0x80000000                                  // 000000002C40: BE9A00FF 80000000
	s_mov_b32 s14, 0x80000000                                  // 000000002C48: BE8E00FF 80000000
	s_mov_b32 s42, 0x80000000                                  // 000000002C50: BEAA00FF 80000000
	s_mov_b32 s30, s61                                         // 000000002C58: BE9E003D
	s_mov_b32 s34, 0x400                                       // 000000002C5C: BEA200FF 00000400
	s_mov_b32 s38, 0x400                                       // 000000002C64: BEA600FF 00000400
	s_mov_b32 s18, 0x80000000                                  // 000000002C6C: BE9200FF 80000000
	s_mov_b32 s23, 0x20000                                     // 000000002C74: BE9700FF 00020000
	s_mov_b32 s27, 0x20000                                     // 000000002C7C: BE9B00FF 00020000
	s_mov_b32 s15, 0x20000                                     // 000000002C84: BE8F00FF 00020000
	s_mov_b32 s43, 0x20000                                     // 000000002C8C: BEAB00FF 00020000
	s_mov_b32 s31, 0x20000                                     // 000000002C94: BE9F00FF 00020000
	s_mov_b32 s35, 0x20000                                     // 000000002C9C: BEA300FF 00020000
	s_mov_b32 s39, 0x20000                                     // 000000002CA4: BEA700FF 00020000
	s_mov_b32 s19, 0x20000                                     // 000000002CAC: BE9300FF 00020000
	s_and_b32 s21, s21, 0xffff                                 // 000000002CB4: 8615FF15 0000FFFF
	s_and_b32 s25, s25, 0xffff                                 // 000000002CBC: 8619FF19 0000FFFF
	s_and_b32 s13, s13, 0xffff                                 // 000000002CC4: 860DFF0D 0000FFFF
	s_and_b32 s41, s41, 0xffff                                 // 000000002CCC: 8629FF29 0000FFFF
	s_and_b32 s29, s29, 0xffff                                 // 000000002CD4: 861DFF1D 0000FFFF
	s_and_b32 s33, s33, 0xffff                                 // 000000002CDC: 8621FF21 0000FFFF
	s_and_b32 s37, s37, 0xffff                                 // 000000002CE4: 8625FF25 0000FFFF
	s_and_b32 s17, s17, 0xffff                                 // 000000002CEC: 8611FF11 0000FFFF
	s_or_b32 s21, s21, 0x40000                                 // 000000002CF4: 8715FF15 00040000
	s_or_b32 s25, s25, 0x40000                                 // 000000002CFC: 8719FF19 00040000
	s_or_b32 s13, s13, 0x40000                                 // 000000002D04: 870DFF0D 00040000
	s_or_b32 s41, s41, 0x40000                                 // 000000002D0C: 8729FF29 00040000
	s_or_b32 s29, s29, 0x40000                                 // 000000002D14: 871DFF1D 00040000
	s_or_b32 s33, s33, 0x40000                                 // 000000002D1C: 8721FF21 00040000
	s_or_b32 s37, s37, 0x40000                                 // 000000002D24: 8725FF25 00040000
	s_or_b32 s17, s17, 0x40000                                 // 000000002D2C: 8711FF11 00040000
	v_accvgpr_write_b32 a127, 0                                // 000000002D34: D3D9407F 18000080
	v_mov_b32_e32 v223, 0                                      // 000000002D3C: 7FBE0280
	s_waitcnt lgkmcnt(0)                                       // 000000002D40: BF8CC07F
	s_mul_i32 s60, s3, 32                                      // 000000002D44: 923CA003
	s_cmp_lt_i32 s60, s50                                      // 000000002D48: BF04323C
	s_cbranch_scc0 label_250B                                  // 000000002D4C: BF842477
	s_mov_b32 s80, 0                                           // 000000002D50: BED00080
	s_mov_b32 s81, s64                                         // 000000002D54: BED10040
	s_mul_i32 s60, s3, 4                                       // 000000002D58: 923C8403
	s_add_u32 s46, s60, s46                                    // 000000002D5C: 802E2E3C
	s_addc_u32 s47, 0, s47                                     // 000000002D60: 822F2F80
	s_load_dword s5, s[46:47], 0x0                             // 000000002D64: C0020157 00000000
	s_mul_i32 s60, s3, 32                                      // 000000002D6C: 923CA003
	s_mul_i32 s60, 4, s60                                      // 000000002D70: 923C3C84
	v_and_b32_e32 v46, 15, v0                                  // 000000002D74: 265C008F
	v_lshlrev_b32_e32 v46, 2, v46                              // 000000002D78: 245C5C82
	v_add_u32_e32 v46, s60, v46                                // 000000002D7C: 685C5C3C
	v_mov_b32_e32 v47, 0                                       // 000000002D80: 7E5E0280
	global_load_dword v6, v46, s[44:45]                        // 000000002D84: DC508000 062C002E
	v_add_u32_e32 v46, 64, v46                                 // 000000002D8C: 685C5CC0
	global_load_dword v7, v46, s[44:45]                        // 000000002D90: DC508000 072C002E
	s_mul_i32 s60, s3, 32                                      // 000000002D98: 923CA003
	s_add_u32 s60, s7, s60                                     // 000000002D9C: 803C3C07
	s_mul_i32 s60, 4, s60                                      // 000000002DA0: 923C3C84
	s_add_u32 s44, s60, s44                                    // 000000002DA4: 802C2C3C
	s_addc_u32 s45, 0, s45                                     // 000000002DA8: 822D2D80
	s_load_dword s82, s[44:45], 0x0                            // 000000002DAC: C0021496 00000000
	s_load_dword s83, s[44:45], 0x10                           // 000000002DB4: C00214D6 00000010
	s_load_dword s84, s[44:45], 0x20                           // 000000002DBC: C0021516 00000020
	s_load_dword s85, s[44:45], 0x30                           // 000000002DC4: C0021556 00000030
	s_load_dword s86, s[44:45], 0x40                           // 000000002DCC: C0021596 00000040
	s_load_dword s87, s[44:45], 0x50                           // 000000002DD4: C00215D6 00000050
	s_load_dword s88, s[44:45], 0x60                           // 000000002DDC: C0021616 00000060
	s_load_dword s89, s[44:45], 0x70                           // 000000002DE4: C0021656 00000070
	s_waitcnt lgkmcnt(0)                                       // 000000002DEC: BF8CC07F
	v_lshlrev_b32_e32 v46, 2, v0                               // 000000002DF0: 245C0082
	s_and_b32 s82, s82, 0xffffff                               // 000000002DF4: 8652FF52 00FFFFFF
	s_mul_i32 s60, s82, s68                                    // 000000002DFC: 923C4452
	v_add_u32_e64 v24, v46, s60                                // 000000002E00: D1340018 0000792E
	s_and_b32 s83, s83, 0xffffff                               // 000000002E08: 8653FF53 00FFFFFF
	s_mul_i32 s60, s83, s68                                    // 000000002E10: 923C4453
	v_add_u32_e64 v25, v46, s60                                // 000000002E14: D1340019 0000792E
	s_and_b32 s84, s84, 0xffffff                               // 000000002E1C: 8654FF54 00FFFFFF
	s_mul_i32 s60, s84, s68                                    // 000000002E24: 923C4454
	v_add_u32_e64 v26, v46, s60                                // 000000002E28: D134001A 0000792E
	s_and_b32 s85, s85, 0xffffff                               // 000000002E30: 8655FF55 00FFFFFF
	s_mul_i32 s60, s85, s68                                    // 000000002E38: 923C4455
	v_add_u32_e64 v27, v46, s60                                // 000000002E3C: D134001B 0000792E
	s_and_b32 s86, s86, 0xffffff                               // 000000002E44: 8656FF56 00FFFFFF
	s_mul_i32 s60, s86, s68                                    // 000000002E4C: 923C4456
	v_add_u32_e64 v28, v46, s60                                // 000000002E50: D134001C 0000792E
	s_and_b32 s87, s87, 0xffffff                               // 000000002E58: 8657FF57 00FFFFFF
	s_mul_i32 s60, s87, s68                                    // 000000002E60: 923C4457
	v_add_u32_e64 v29, v46, s60                                // 000000002E64: D134001D 0000792E
	s_and_b32 s88, s88, 0xffffff                               // 000000002E6C: 8658FF58 00FFFFFF
	s_mul_i32 s60, s88, s68                                    // 000000002E74: 923C4458
	v_add_u32_e64 v30, v46, s60                                // 000000002E78: D134001E 0000792E
	s_and_b32 s89, s89, 0xffffff                               // 000000002E80: 8659FF59 00FFFFFF
	s_mul_i32 s60, s89, s68                                    // 000000002E88: 923C4459
	v_add_u32_e64 v31, v46, s60                                // 000000002E8C: D134001F 0000792E
	v_lshlrev_b32_e32 v46, 2, v0                               // 000000002E94: 245C0082
	s_mul_i32 s60, s82, s71                                    // 000000002E98: 923C4752
	v_add_u32_e64 v80, v46, s60                                // 000000002E9C: D1340050 0000792E
	v_mov_b32_e32 v81, 0                                       // 000000002EA4: 7EA20280
	s_mul_i32 s60, s83, s71                                    // 000000002EA8: 923C4753
	v_add_u32_e64 v82, v46, s60                                // 000000002EAC: D1340052 0000792E
	v_mov_b32_e32 v83, 0                                       // 000000002EB4: 7EA60280
	s_mul_i32 s60, s84, s71                                    // 000000002EB8: 923C4754
	v_add_u32_e64 v84, v46, s60                                // 000000002EBC: D1340054 0000792E
	v_mov_b32_e32 v85, 0                                       // 000000002EC4: 7EAA0280
	s_mul_i32 s60, s85, s71                                    // 000000002EC8: 923C4755
	v_add_u32_e64 v86, v46, s60                                // 000000002ECC: D1340056 0000792E
	v_mov_b32_e32 v87, 0                                       // 000000002ED4: 7EAE0280
	s_mul_i32 s60, s86, s71                                    // 000000002ED8: 923C4756
	v_add_u32_e64 v88, v46, s60                                // 000000002EDC: D1340058 0000792E
	v_mov_b32_e32 v89, 0                                       // 000000002EE4: 7EB20280
	s_mul_i32 s60, s87, s71                                    // 000000002EE8: 923C4757
	v_add_u32_e64 v90, v46, s60                                // 000000002EEC: D134005A 0000792E
	v_mov_b32_e32 v91, 0                                       // 000000002EF4: 7EB60280
	s_mul_i32 s60, s88, s71                                    // 000000002EF8: 923C4758
	v_add_u32_e64 v92, v46, s60                                // 000000002EFC: D134005C 0000792E
	v_mov_b32_e32 v93, 0                                       // 000000002F04: 7EBA0280
	s_mul_i32 s60, s89, s71                                    // 000000002F08: 923C4759
	v_add_u32_e64 v94, v46, s60                                // 000000002F0C: D134005E 0000792E
	v_mov_b32_e32 v95, 0                                       // 000000002F14: 7EBE0280
	s_mul_i32 s60, s7, 0x820                                   // 000000002F18: 923CFF07 00000820
	s_add_u32 s50, 0, s60                                      // 000000002F20: 80323C80
	s_add_u32 s51, 0x2080, s50                                 // 000000002F24: 803332FF 00002080
	v_lshrrev_b32_e32 v46, 4, v0                               // 000000002F2C: 205C0084
	v_lshlrev_b32_e32 v47, 3, v46                              // 000000002F30: 245E5C83
	v_and_b32_e32 v46, 15, v0                                  // 000000002F34: 265C008F
	v_lshrrev_b32_e32 v48, 2, v46                              // 000000002F38: 20605C82
	v_lshlrev_b32_e32 v48, 6, v48                              // 000000002F3C: 24606086
	v_add_u32_e32 v47, v48, v47                                // 000000002F40: 685E5F30
	v_and_b32_e32 v46, 3, v0                                   // 000000002F44: 265C0083
	v_mul_i32_i24_e32 v48, 0x208, v46                          // 000000002F48: 0C605CFF 00000208
	v_add_u32_e32 v47, v48, v47                                // 000000002F50: 685E5F30
	v_lshlrev_b32_e32 v2, 2, v47                               // 000000002F54: 24045E82
	s_mul_i32 s60, s2, 0x100                                   // 000000002F58: 923CFF02 00000100
	s_mul_i32 s60, s60, s69                                    // 000000002F60: 923C453C
	s_mul_i32 s61, s5, s72                                     // 000000002F64: 923D4805
	s_add_u32 s60, s61, s60                                    // 000000002F68: 803C3C3D
	s_add_u32 s24, s60, s24                                    // 000000002F6C: 8018183C
	s_addc_u32 s25, 0, s25                                     // 000000002F70: 82191980
	s_mul_i32 s60, s7, 16                                      // 000000002F74: 923C9007
	s_mul_i32 s60, s60, s69                                    // 000000002F78: 923C453C
	v_lshlrev_b32_e32 v32, 4, v0                               // 000000002F7C: 24400084
	v_add_u32_e32 v32, s60, v32                                // 000000002F80: 6840403C
	s_mul_i32 s60, 64, s69                                     // 000000002F84: 923C45C0
	v_add_u32_e32 v33, s60, v32                                // 000000002F88: 6842403C
	v_add_u32_e32 v34, s60, v33                                // 000000002F8C: 6844423C
	v_add_u32_e32 v35, s60, v34                                // 000000002F90: 6846443C
	s_mov_b32 s92, s24                                         // 000000002F94: BEDC0018
	s_mov_b32 s93, s25                                         // 000000002F98: BEDD0019
	s_mov_b32 s94, s26                                         // 000000002F9C: BEDE001A
	s_mov_b32 s95, s27                                         // 000000002FA0: BEDF001B
	s_mul_i32 s60, s69, s65                                    // 000000002FA4: 923C4145
	s_add_u32 s92, s60, s92                                    // 000000002FA8: 805C5C3C
	s_addc_u32 s93, 0, s93                                     // 000000002FAC: 825D5D80
	s_mul_i32 s60, s2, 0x800                                   // 000000002FB0: 923CFF02 00000800
	s_mul_i32 s61, s5, s73                                     // 000000002FB8: 923D4905
	s_add_u32 s60, s61, s60                                    // 000000002FBC: 803C3C3D
	s_add_u32 s12, s60, s12                                    // 000000002FC0: 800C0C3C
	s_addc_u32 s13, 0, s13                                     // 000000002FC4: 820D0D80
	s_mul_i32 s60, s7, 16                                      // 000000002FC8: 923C9007
	s_mul_i32 s60, s60, s70                                    // 000000002FCC: 923C463C
	v_lshlrev_b32_e32 v36, 4, v0                               // 000000002FD0: 24480084
	v_add_u32_e32 v36, s60, v36                                // 000000002FD4: 6848483C
	s_mul_i32 s60, 64, s70                                     // 000000002FD8: 923C46C0
	v_add_u32_e32 v37, s60, v36                                // 000000002FDC: 684A483C
	v_add_u32_e32 v38, s60, v37                                // 000000002FE0: 684C4A3C
	v_add_u32_e32 v39, s60, v38                                // 000000002FE4: 684E4C3C
	s_mul_i32 s60, s70, 0x100                                  // 000000002FE8: 923CFF46 00000100
	s_mov_b32 s78, 0x400                                       // 000000002FF0: BECE00FF 00000400
	s_mul_i32 s61, s78, 1                                      // 000000002FF8: 923D814E
	s_sub_u32 s56, s60, s61                                    // 000000002FFC: 80B83D3C
	s_mul_i32 s60, s3, 32                                      // 000000003000: 923CA003
	s_mul_i32 s60, 4, s60                                      // 000000003004: 923C3C84
	s_add_u32 s40, s60, s40                                    // 000000003008: 8028283C
	s_addc_u32 s41, 0, s41                                     // 00000000300C: 82292980
	v_and_b32_e32 v46, 15, v0                                  // 000000003010: 265C008F
	v_lshlrev_b32_e32 v8, 2, v46                               // 000000003014: 24105C82
	v_add_u32_e32 v9, 64, v8                                   // 000000003018: 681210C0
	v_lshrrev_b32_e32 v46, 4, v0                               // 00000000301C: 205C0084
	v_lshlrev_b32_e32 v47, 2, v46                              // 000000003020: 245E5C82
	v_and_b32_e32 v46, 15, v0                                  // 000000003024: 265C008F
	v_lshrrev_b32_e32 v48, 2, v46                              // 000000003028: 20605C82
	v_lshlrev_b32_e32 v48, 6, v48                              // 00000000302C: 24606086
	v_add_u32_e32 v47, v48, v47                                // 000000003030: 685E5F30
	v_and_b32_e32 v46, 3, v0                                   // 000000003034: 265C0083
	v_add_u32_e32 v47, v46, v47                                // 000000003038: 685E5F2E
	v_lshlrev_b32_e32 v10, 2, v47                              // 00000000303C: 24145E82
	v_add_u32_e32 v11, 0x400, v10                              // 000000003040: 681614FF 00000400
	s_mul_i32 s60, s7, 16                                      // 000000003048: 923C9007
	s_mul_i32 s60, s60, 4                                      // 00000000304C: 923C843C
	v_add_u32_e32 v10, s60, v10                                // 000000003050: 6814143C
	v_add_u32_e32 v11, s60, v11                                // 000000003054: 6816163C
	v_mov_b32_e32 v5, v10                                      // 000000003058: 7E0A030A
	s_mul_i32 s60, s2, 0x100                                   // 00000000305C: 923CFF02 00000100
	s_mul_i32 s60, s60, 4                                      // 000000003064: 923C843C
	s_mul_i32 s61, s5, s74                                     // 000000003068: 923D4A05
	s_add_u32 s61, s61, s60                                    // 00000000306C: 803D3C3D
	s_mul_i32 s62, s5, s76                                     // 000000003070: 923E4C05
	s_add_u32 s62, s62, s60                                    // 000000003074: 803E3C3E
	s_add_u32 s32, s61, s32                                    // 000000003078: 8020203D
	s_addc_u32 s33, 0, s33                                     // 00000000307C: 82212180
	s_add_u32 s36, s62, s36                                    // 000000003080: 8024243E
	s_addc_u32 s37, 0, s37                                     // 000000003084: 82252580
	s_mul_i32 s60, s5, s75                                     // 000000003088: 923C4B05
	s_add_u32 s16, s60, s16                                    // 00000000308C: 8010103C
	s_addc_u32 s17, 0, s17                                     // 000000003090: 82111180
	s_mov_b32 s57, 0x100                                       // 000000003094: BEB900FF 00000100
	s_mov_b32 s58, 0x800                                       // 00000000309C: BEBA00FF 00000800
	s_mov_b32 s79, 0x400                                       // 0000000030A4: BECF00FF 00000400
	s_mov_b32 s59, 0x200                                       // 0000000030AC: BEBB00FF 00000200
	s_mov_b32 s90, s58                                         // 0000000030B4: BEDA003A
	s_mov_b32 s52, 0x7060302                                   // 0000000030B8: BEB400FF 07060302
	s_mov_b32 s53, 0x400                                       // 0000000030C0: BEB500FF 00000400
	s_mov_b32 s54, 0x40100                                     // 0000000030C8: BEB600FF 00040100
	s_mov_b32 s55, 0x4020100                                   // 0000000030D0: BEB700FF 04020100
	s_mov_b32 s6, 0x3fb8aa3b                                   // 0000000030D8: BE8600FF 3FB8AA3B
	s_mov_b32 s77, 0xbd92220c                                  // 0000000030E0: BECD00FF BD92220C
	s_mov_b32 m0, s50                                          // 0000000030E8: BEFC0032
	v_mov_b32_e32 v1, 0xbfcc4231                               // 0000000030EC: 7E0202FF BFCC4231
	v_mov_b32_e32 v41, 0xffff0000                              // 0000000030F4: 7E5202FF FFFF0000
	v_mov_b32_e32 v42, 0x7fff0000                              // 0000000030FC: 7E5402FF 7FFF0000
	v_mov_b32_e32 v43, 0x7fff                                  // 000000003104: 7E5602FF 00007FFF
	s_waitcnt vmcnt(0) expcnt(0) lgkmcnt(0)                    // 00000000310C: BF8C0000
	v_and_b32_e32 v6, 0xffffff, v6                             // 000000003110: 260C0CFF 00FFFFFF
	v_and_b32_e32 v7, 0xffffff, v7                             // 000000003118: 260E0EFF 00FFFFFF
	v_lshlrev_b32_e32 v6, 2, v6                                // 000000003120: 240C0C82
	v_lshlrev_b32_e32 v7, 2, v7                                // 000000003124: 240E0E82
	buffer_load_dword v13, v6, s[28:31], 0 offen               // 000000003128: E0501000 80070D06
	buffer_load_dword v14, v7, s[28:31], 0 offen               // 000000003130: E0501000 80070E07
	buffer_load_dword v15, v10, s[32:35], 0 offen              // 000000003138: E0501000 80080F0A
	buffer_load_dword v16, v11, s[32:35], 0 offen              // 000000003140: E0501000 8008100B
	s_mul_i32 s60, 4, s65                                      // 000000003148: 923C4184
	s_add_u32 s32, s60, s32                                    // 00000000314C: 8020203C
	s_addc_u32 s33, 0, s33                                     // 000000003150: 82212180
	buffer_load_dword v44, v10, s[32:35], 0 offen              // 000000003154: E0501000 80082C0A
	buffer_load_dword v45, v11, s[32:35], 0 offen              // 00000000315C: E0501000 80082D0B
	buffer_load_dword v16, v10, s[36:39], 0 offen              // 000000003164: E0501000 8009100A
	buffer_load_dword v17, v11, s[36:39], 0 offen              // 00000000316C: E0501000 8009110B
	buffer_load_dword v17, v8, s[40:43], 0 offen               // 000000003174: E0501000 800A1108
	buffer_load_dword v18, v9, s[40:43], 0 offen               // 00000000317C: E0501000 800A1209
	buffer_load_dword v24, s[20:23], 0 offen lds               // 000000003184: E0511000 80050018
	s_add_u32 m0, 0x100, s50                                   // 00000000318C: 807C32FF 00000100
	buffer_load_dword v25, s[20:23], 0 offen lds               // 000000003194: E0511000 80050019
	s_add_u32 m0, 0x200, s50                                   // 00000000319C: 807C32FF 00000200
	buffer_load_dword v26, s[20:23], 0 offen lds               // 0000000031A4: E0511000 8005001A
	s_add_u32 m0, 0x300, s50                                   // 0000000031AC: 807C32FF 00000300
	buffer_load_dword v27, s[20:23], 0 offen lds               // 0000000031B4: E0511000 8005001B
	s_add_u32 m0, 0x400, s50                                   // 0000000031BC: 807C32FF 00000400
	buffer_load_dword v28, s[20:23], 0 offen lds               // 0000000031C4: E0511000 8005001C
	s_add_u32 m0, 0x500, s50                                   // 0000000031CC: 807C32FF 00000500
	buffer_load_dword v29, s[20:23], 0 offen lds               // 0000000031D4: E0511000 8005001D
	s_add_u32 m0, 0x600, s50                                   // 0000000031DC: 807C32FF 00000600
	buffer_load_dword v30, s[20:23], 0 offen lds               // 0000000031E4: E0511000 8005001E
	s_add_u32 m0, 0x700, s50                                   // 0000000031EC: 807C32FF 00000700
	buffer_load_dword v31, s[20:23], 0 offen lds               // 0000000031F4: E0511000 8005001F
	s_add_u32 m0, 0, s51                                       // 0000000031FC: 807C3380
	s_add_u32 s20, s57, s20                                    // 000000003200: 80141439
	s_addc_u32 s21, 0, s21                                     // 000000003204: 82151580
	buffer_load_dwordx4 a[32:35], v32, s[24:27], 0 offen       // 000000003208: E05C1000 80862020
	buffer_load_dwordx4 a[36:39], v32, s[24:27], 0 offen offset:1024// 000000003210: E05C1400 80862420
	buffer_load_dwordx4 a[40:43], v33, s[24:27], 0 offen       // 000000003218: E05C1000 80862821
	buffer_load_dwordx4 a[44:47], v33, s[24:27], 0 offen offset:1024// 000000003220: E05C1400 80862C21
	buffer_load_dwordx4 a[48:51], v34, s[24:27], 0 offen       // 000000003228: E05C1000 80863022
	buffer_load_dwordx4 a[52:55], v34, s[24:27], 0 offen offset:1024// 000000003230: E05C1400 80863422
	buffer_load_dwordx4 a[56:59], v35, s[24:27], 0 offen       // 000000003238: E05C1000 80863823
	buffer_load_dwordx4 a[60:63], v35, s[24:27], 0 offen offset:1024// 000000003240: E05C1400 80863C23
	s_add_u32 s24, s58, s24                                    // 000000003248: 8018183A
	s_addc_u32 s25, 0, s25                                     // 00000000324C: 82191980
	v_mov_b32_e32 v128, 0                                      // 000000003250: 7F000280
	v_mov_b32_e32 v64, 0                                       // 000000003254: 7E800280
	v_mov_b32_e32 v129, 0                                      // 000000003258: 7F020280
	v_mov_b32_e32 v65, 0                                       // 00000000325C: 7E820280
	v_mov_b32_e32 v130, 0                                      // 000000003260: 7F040280
	v_mov_b32_e32 v66, 0                                       // 000000003264: 7E840280
	v_mov_b32_e32 v131, 0                                      // 000000003268: 7F060280
	v_mov_b32_e32 v67, 0                                       // 00000000326C: 7E860280
	v_mov_b32_e32 v132, 0                                      // 000000003270: 7F080280
	v_mov_b32_e32 v68, 0                                       // 000000003274: 7E880280
	v_mov_b32_e32 v133, 0                                      // 000000003278: 7F0A0280
	v_mov_b32_e32 v69, 0                                       // 00000000327C: 7E8A0280
	v_mov_b32_e32 v134, 0                                      // 000000003280: 7F0C0280
	v_mov_b32_e32 v70, 0                                       // 000000003284: 7E8C0280
	v_mov_b32_e32 v135, 0                                      // 000000003288: 7F0E0280
	v_mov_b32_e32 v71, 0                                       // 00000000328C: 7E8E0280
	v_mov_b32_e32 v136, 0                                      // 000000003290: 7F100280
	v_mov_b32_e32 v72, 0                                       // 000000003294: 7E900280
	v_mov_b32_e32 v137, 0                                      // 000000003298: 7F120280
	v_mov_b32_e32 v73, 0                                       // 00000000329C: 7E920280
	v_mov_b32_e32 v138, 0                                      // 0000000032A0: 7F140280
	v_mov_b32_e32 v74, 0                                       // 0000000032A4: 7E940280
	v_mov_b32_e32 v139, 0                                      // 0000000032A8: 7F160280
	v_mov_b32_e32 v75, 0                                       // 0000000032AC: 7E960280
	v_mov_b32_e32 v140, 0                                      // 0000000032B0: 7F180280
	v_mov_b32_e32 v76, 0                                       // 0000000032B4: 7E980280
	v_mov_b32_e32 v141, 0                                      // 0000000032B8: 7F1A0280
	v_mov_b32_e32 v77, 0                                       // 0000000032BC: 7E9A0280
	v_mov_b32_e32 v142, 0                                      // 0000000032C0: 7F1C0280
	v_mov_b32_e32 v78, 0                                       // 0000000032C4: 7E9C0280
	v_mov_b32_e32 v143, 0                                      // 0000000032C8: 7F1E0280
	v_mov_b32_e32 v79, 0                                       // 0000000032CC: 7E9E0280
	v_mov_b32_e32 v144, 0                                      // 0000000032D0: 7F200280
	v_mov_b32_e32 v80, 0                                       // 0000000032D4: 7EA00280
	v_mov_b32_e32 v145, 0                                      // 0000000032D8: 7F220280
	v_mov_b32_e32 v81, 0                                       // 0000000032DC: 7EA20280
	v_mov_b32_e32 v146, 0                                      // 0000000032E0: 7F240280
	v_mov_b32_e32 v82, 0                                       // 0000000032E4: 7EA40280
	v_mov_b32_e32 v147, 0                                      // 0000000032E8: 7F260280
	v_mov_b32_e32 v83, 0                                       // 0000000032EC: 7EA60280
	v_mov_b32_e32 v148, 0                                      // 0000000032F0: 7F280280
	v_mov_b32_e32 v84, 0                                       // 0000000032F4: 7EA80280
	v_mov_b32_e32 v149, 0                                      // 0000000032F8: 7F2A0280
	v_mov_b32_e32 v85, 0                                       // 0000000032FC: 7EAA0280
	v_mov_b32_e32 v150, 0                                      // 000000003300: 7F2C0280
	v_mov_b32_e32 v86, 0                                       // 000000003304: 7EAC0280
	v_mov_b32_e32 v151, 0                                      // 000000003308: 7F2E0280
	v_mov_b32_e32 v87, 0                                       // 00000000330C: 7EAE0280
	v_mov_b32_e32 v152, 0                                      // 000000003310: 7F300280
	v_mov_b32_e32 v88, 0                                       // 000000003314: 7EB00280
	v_mov_b32_e32 v153, 0                                      // 000000003318: 7F320280
	v_mov_b32_e32 v89, 0                                       // 00000000331C: 7EB20280
	v_mov_b32_e32 v154, 0                                      // 000000003320: 7F340280
	v_mov_b32_e32 v90, 0                                       // 000000003324: 7EB40280
	v_mov_b32_e32 v155, 0                                      // 000000003328: 7F360280
	v_mov_b32_e32 v91, 0                                       // 00000000332C: 7EB60280
	v_mov_b32_e32 v156, 0                                      // 000000003330: 7F380280
	v_mov_b32_e32 v92, 0                                       // 000000003334: 7EB80280
	v_mov_b32_e32 v157, 0                                      // 000000003338: 7F3A0280
	v_mov_b32_e32 v93, 0                                       // 00000000333C: 7EBA0280
	v_mov_b32_e32 v158, 0                                      // 000000003340: 7F3C0280
	v_mov_b32_e32 v94, 0                                       // 000000003344: 7EBC0280
	v_mov_b32_e32 v159, 0                                      // 000000003348: 7F3E0280
	v_mov_b32_e32 v95, 0                                       // 00000000334C: 7EBE0280
	v_lshrrev_b32_e32 v46, 4, v0                               // 000000003350: 205C0084
	v_mul_i32_i24_e32 v3, 34, v46                              // 000000003354: 0C065CA2
	v_and_b32_e32 v46, 15, v0                                  // 000000003358: 265C008F
	v_mul_i32_i24_e32 v47, 2, v46                              // 00000000335C: 0C5E5C82
	v_add_u32_e32 v3, v47, v3                                  // 000000003360: 6806072F
	s_mul_i32 s60, s7, 0x88                                    // 000000003364: 923CFF07 00000088
	v_add_u32_e32 v3, s60, v3                                  // 00000000336C: 6806063C
	v_lshlrev_b32_e32 v3, 2, v3                                // 000000003370: 24060682
	v_lshrrev_b32_e32 v46, 1, v0                               // 000000003374: 205C0081
	v_mul_i32_i24_e32 v4, 34, v46                              // 000000003378: 0C085CA2
	v_and_b32_e32 v47, 1, v0                                   // 00000000337C: 265E0081
	v_add_u32_e32 v4, v47, v4                                  // 000000003380: 6808092F
	s_mul_i32 s60, s7, 2                                       // 000000003384: 923C8207
	v_add_u32_e32 v4, s60, v4                                  // 000000003388: 6808083C
	v_lshlrev_b32_e32 v4, 2, v4                                // 00000000338C: 24080882
	s_waitcnt vmcnt(8)                                         // 000000003390: BF8C0F78
	s_barrier                                                  // 000000003394: BF8A0000
	ds_read_b128 v[160:163], v2                                // 000000003398: D9FE0000 A0000002
	ds_read_b128 v[164:167], v2 offset:16                      // 0000000033A0: D9FE0010 A4000002
	ds_read_b128 v[168:171], v2 offset:128                     // 0000000033A8: D9FE0080 A8000002
	ds_read_b128 v[172:175], v2 offset:144                     // 0000000033B0: D9FE0090 AC000002
	ds_read_b128 v[176:179], v2 offset:1024                    // 0000000033B8: D9FE0400 B0000002
	ds_read_b128 v[180:183], v2 offset:1040                    // 0000000033C0: D9FE0410 B4000002
	ds_read_b128 v[184:187], v2 offset:1152                    // 0000000033C8: D9FE0480 B8000002
	ds_read_b128 v[188:191], v2 offset:1168                    // 0000000033D0: D9FE0490 BC000002

00000000000033d8 <label_0236>:
	s_waitcnt vmcnt(4) lgkmcnt(0)                              // 0000000033D8: BF8C0074
	s_barrier                                                  // 0000000033DC: BF8A0000
	v_accvgpr_read_b32 v46, a32                                // 0000000033E0: D3D8402E 18000120
	v_cvt_off_f32_i4_e32 v47, v46                              // 0000000033E8: 7E5E1D2E
	v_cvt_off_f32_i4_sdwa v48, v46 dst_sel:DWORD dst_unused:UNUSED_PRESERVE src0_sel:BYTE_2// 0000000033EC: 7E601CF9 0002162E
	v_cvt_pk_fp8_f32 v50, v47, v48                             // 0000000033F4: D2A20032 0002612F
	v_cvt_off_f32_i4_sdwa v47, v46 dst_sel:DWORD dst_unused:UNUSED_PRESERVE src0_sel:BYTE_1// 0000000033FC: 7E5E1CF9 0001162E
	v_cvt_off_f32_i4_sdwa v48, v46 dst_sel:DWORD dst_unused:UNUSED_PRESERVE src0_sel:BYTE_3// 000000003404: 7E601CF9 0003162E
	v_cvt_pk_fp8_f32 v51, v47, v48                             // 00000000340C: D2A20033 0002612F
	v_lshrrev_b32_e32 v49, 4, v46                              // 000000003414: 20625C84
	v_cvt_off_f32_i4_e32 v47, v49                              // 000000003418: 7E5E1D31
	v_cvt_off_f32_i4_sdwa v48, v49 dst_sel:DWORD dst_unused:UNUSED_PRESERVE src0_sel:BYTE_2// 00000000341C: 7E601CF9 00021631
	v_cvt_pk_fp8_f32 v50, v47, v48 op_sel:[0,0,1]              // 000000003424: D2A24032 0002612F
	v_cvt_off_f32_i4_sdwa v47, v49 dst_sel:DWORD dst_unused:UNUSED_PRESERVE src0_sel:BYTE_1// 00000000342C: 7E5E1CF9 00011631
	v_cvt_off_f32_i4_sdwa v48, v49 dst_sel:DWORD dst_unused:UNUSED_PRESERVE src0_sel:BYTE_3// 000000003434: 7E601CF9 00031631
	v_cvt_pk_fp8_f32 v51, v47, v48 op_sel:[0,0,1]              // 00000000343C: D2A24033 0002612F
	v_accvgpr_write_b32 a0, v50                                // 000000003444: D3D94000 18000132
	v_accvgpr_write_b32 a1, v51                                // 00000000344C: D3D94001 18000133
	s_nop 3                                                    // 000000003454: BF800003
	v_mfma_f32_16x16x32_fp8_fp8 v[128:131], a[0:1], v[160:161], v[128:131]// 000000003458: D3F30080 0E034100
	v_accvgpr_read_b32 v46, a33                                // 000000003460: D3D8402E 18000121
	v_cvt_off_f32_i4_e32 v47, v46                              // 000000003468: 7E5E1D2E
	v_cvt_off_f32_i4_sdwa v48, v46 dst_sel:DWORD dst_unused:UNUSED_PRESERVE src0_sel:BYTE_2// 00000000346C: 7E601CF9 0002162E
	v_cvt_pk_fp8_f32 v50, v47, v48                             // 000000003474: D2A20032 0002612F
	v_cvt_off_f32_i4_sdwa v47, v46 dst_sel:DWORD dst_unused:UNUSED_PRESERVE src0_sel:BYTE_1// 00000000347C: 7E5E1CF9 0001162E
	v_cvt_off_f32_i4_sdwa v48, v46 dst_sel:DWORD dst_unused:UNUSED_PRESERVE src0_sel:BYTE_3// 000000003484: 7E601CF9 0003162E
	v_cvt_pk_fp8_f32 v51, v47, v48                             // 00000000348C: D2A20033 0002612F
	v_lshrrev_b32_e32 v49, 4, v46                              // 000000003494: 20625C84
	v_cvt_off_f32_i4_e32 v47, v49                              // 000000003498: 7E5E1D31
	v_cvt_off_f32_i4_sdwa v48, v49 dst_sel:DWORD dst_unused:UNUSED_PRESERVE src0_sel:BYTE_2// 00000000349C: 7E601CF9 00021631
	v_cvt_pk_fp8_f32 v50, v47, v48 op_sel:[0,0,1]              // 0000000034A4: D2A24032 0002612F
	v_cvt_off_f32_i4_sdwa v47, v49 dst_sel:DWORD dst_unused:UNUSED_PRESERVE src0_sel:BYTE_1// 0000000034AC: 7E5E1CF9 00011631
	v_cvt_off_f32_i4_sdwa v48, v49 dst_sel:DWORD dst_unused:UNUSED_PRESERVE src0_sel:BYTE_3// 0000000034B4: 7E601CF9 00031631
	v_cvt_pk_fp8_f32 v51, v47, v48 op_sel:[0,0,1]              // 0000000034BC: D2A24033 0002612F
	v_accvgpr_write_b32 a2, v50                                // 0000000034C4: D3D94002 18000132
	v_accvgpr_write_b32 a3, v51                                // 0000000034CC: D3D94003 18000133
	s_nop 3                                                    // 0000000034D4: BF800003
	v_mfma_f32_16x16x32_fp8_fp8 v[128:131], a[2:3], v[162:163], v[128:131]// 0000000034D8: D3F30080 0E034502
	buffer_load_dwordx4 a[96:99], v32, s[92:95], 0 offen       // 0000000034E0: E05C1000 80976020
	v_accvgpr_read_b32 v46, a34                                // 0000000034E8: D3D8402E 18000122
	v_cvt_off_f32_i4_e32 v47, v46                              // 0000000034F0: 7E5E1D2E
	v_cvt_off_f32_i4_sdwa v48, v46 dst_sel:DWORD dst_unused:UNUSED_PRESERVE src0_sel:BYTE_2// 0000000034F4: 7E601CF9 0002162E
	v_cvt_pk_fp8_f32 v50, v47, v48                             // 0000000034FC: D2A20032 0002612F
	v_cvt_off_f32_i4_sdwa v47, v46 dst_sel:DWORD dst_unused:UNUSED_PRESERVE src0_sel:BYTE_1// 000000003504: 7E5E1CF9 0001162E
	v_cvt_off_f32_i4_sdwa v48, v46 dst_sel:DWORD dst_unused:UNUSED_PRESERVE src0_sel:BYTE_3// 00000000350C: 7E601CF9 0003162E
	v_cvt_pk_fp8_f32 v51, v47, v48                             // 000000003514: D2A20033 0002612F
	v_lshrrev_b32_e32 v49, 4, v46                              // 00000000351C: 20625C84
	v_cvt_off_f32_i4_e32 v47, v49                              // 000000003520: 7E5E1D31
	v_cvt_off_f32_i4_sdwa v48, v49 dst_sel:DWORD dst_unused:UNUSED_PRESERVE src0_sel:BYTE_2// 000000003524: 7E601CF9 00021631
	v_cvt_pk_fp8_f32 v50, v47, v48 op_sel:[0,0,1]              // 00000000352C: D2A24032 0002612F
	v_cvt_off_f32_i4_sdwa v47, v49 dst_sel:DWORD dst_unused:UNUSED_PRESERVE src0_sel:BYTE_1// 000000003534: 7E5E1CF9 00011631
	v_cvt_off_f32_i4_sdwa v48, v49 dst_sel:DWORD dst_unused:UNUSED_PRESERVE src0_sel:BYTE_3// 00000000353C: 7E601CF9 00031631
	v_cvt_pk_fp8_f32 v51, v47, v48 op_sel:[0,0,1]              // 000000003544: D2A24033 0002612F
	v_accvgpr_write_b32 a4, v50                                // 00000000354C: D3D94004 18000132
	v_accvgpr_write_b32 a5, v51                                // 000000003554: D3D94005 18000133
	s_nop 3                                                    // 00000000355C: BF800003
	v_mfma_f32_16x16x32_fp8_fp8 v[128:131], a[4:5], v[164:165], v[128:131]// 000000003560: D3F30080 0E034904
	v_accvgpr_read_b32 v46, a35                                // 000000003568: D3D8402E 18000123
	v_cvt_off_f32_i4_e32 v47, v46                              // 000000003570: 7E5E1D2E
	v_cvt_off_f32_i4_sdwa v48, v46 dst_sel:DWORD dst_unused:UNUSED_PRESERVE src0_sel:BYTE_2// 000000003574: 7E601CF9 0002162E
	v_cvt_pk_fp8_f32 v50, v47, v48                             // 00000000357C: D2A20032 0002612F
	v_cvt_off_f32_i4_sdwa v47, v46 dst_sel:DWORD dst_unused:UNUSED_PRESERVE src0_sel:BYTE_1// 000000003584: 7E5E1CF9 0001162E
	v_cvt_off_f32_i4_sdwa v48, v46 dst_sel:DWORD dst_unused:UNUSED_PRESERVE src0_sel:BYTE_3// 00000000358C: 7E601CF9 0003162E
	v_cvt_pk_fp8_f32 v51, v47, v48                             // 000000003594: D2A20033 0002612F
	v_lshrrev_b32_e32 v49, 4, v46                              // 00000000359C: 20625C84
	v_cvt_off_f32_i4_e32 v47, v49                              // 0000000035A0: 7E5E1D31
	v_cvt_off_f32_i4_sdwa v48, v49 dst_sel:DWORD dst_unused:UNUSED_PRESERVE src0_sel:BYTE_2// 0000000035A4: 7E601CF9 00021631
	v_cvt_pk_fp8_f32 v50, v47, v48 op_sel:[0,0,1]              // 0000000035AC: D2A24032 0002612F
	v_cvt_off_f32_i4_sdwa v47, v49 dst_sel:DWORD dst_unused:UNUSED_PRESERVE src0_sel:BYTE_1// 0000000035B4: 7E5E1CF9 00011631
	v_cvt_off_f32_i4_sdwa v48, v49 dst_sel:DWORD dst_unused:UNUSED_PRESERVE src0_sel:BYTE_3// 0000000035BC: 7E601CF9 00031631
	v_cvt_pk_fp8_f32 v51, v47, v48 op_sel:[0,0,1]              // 0000000035C4: D2A24033 0002612F
	v_accvgpr_write_b32 a6, v50                                // 0000000035CC: D3D94006 18000132
	v_accvgpr_write_b32 a7, v51                                // 0000000035D4: D3D94007 18000133
	s_nop 3                                                    // 0000000035DC: BF800003
	v_mfma_f32_16x16x32_fp8_fp8 v[128:131], a[6:7], v[166:167], v[128:131]// 0000000035E0: D3F30080 0E034D06
	buffer_load_dword v24, s[20:23], 0 offen lds               // 0000000035E8: E0511000 80050018
	s_add_u32 m0, 0x100, s51                                   // 0000000035F0: 807C33FF 00000100
	v_accvgpr_read_b32 v46, a36                                // 0000000035F8: D3D8402E 18000124
	v_cvt_off_f32_i4_e32 v47, v46                              // 000000003600: 7E5E1D2E
	v_cvt_off_f32_i4_sdwa v48, v46 dst_sel:DWORD dst_unused:UNUSED_PRESERVE src0_sel:BYTE_2// 000000003604: 7E601CF9 0002162E
	v_cvt_pk_fp8_f32 v50, v47, v48                             // 00000000360C: D2A20032 0002612F
	v_cvt_off_f32_i4_sdwa v47, v46 dst_sel:DWORD dst_unused:UNUSED_PRESERVE src0_sel:BYTE_1// 000000003614: 7E5E1CF9 0001162E
	v_cvt_off_f32_i4_sdwa v48, v46 dst_sel:DWORD dst_unused:UNUSED_PRESERVE src0_sel:BYTE_3// 00000000361C: 7E601CF9 0003162E
	v_cvt_pk_fp8_f32 v51, v47, v48                             // 000000003624: D2A20033 0002612F
	v_lshrrev_b32_e32 v49, 4, v46                              // 00000000362C: 20625C84
	v_cvt_off_f32_i4_e32 v47, v49                              // 000000003630: 7E5E1D31
	v_cvt_off_f32_i4_sdwa v48, v49 dst_sel:DWORD dst_unused:UNUSED_PRESERVE src0_sel:BYTE_2// 000000003634: 7E601CF9 00021631
	v_cvt_pk_fp8_f32 v50, v47, v48 op_sel:[0,0,1]              // 00000000363C: D2A24032 0002612F
	v_cvt_off_f32_i4_sdwa v47, v49 dst_sel:DWORD dst_unused:UNUSED_PRESERVE src0_sel:BYTE_1// 000000003644: 7E5E1CF9 00011631
	v_cvt_off_f32_i4_sdwa v48, v49 dst_sel:DWORD dst_unused:UNUSED_PRESERVE src0_sel:BYTE_3// 00000000364C: 7E601CF9 00031631
	v_cvt_pk_fp8_f32 v51, v47, v48 op_sel:[0,0,1]              // 000000003654: D2A24033 0002612F
	v_accvgpr_write_b32 a8, v50                                // 00000000365C: D3D94008 18000132
	v_accvgpr_write_b32 a9, v51                                // 000000003664: D3D94009 18000133
	s_nop 3                                                    // 00000000366C: BF800003
	v_mfma_f32_16x16x32_fp8_fp8 v[128:131], a[8:9], v[168:169], v[128:131]// 000000003670: D3F30080 0E035108
	v_accvgpr_read_b32 v46, a37                                // 000000003678: D3D8402E 18000125
	v_cvt_off_f32_i4_e32 v47, v46                              // 000000003680: 7E5E1D2E
	v_cvt_off_f32_i4_sdwa v48, v46 dst_sel:DWORD dst_unused:UNUSED_PRESERVE src0_sel:BYTE_2// 000000003684: 7E601CF9 0002162E
	v_cvt_pk_fp8_f32 v50, v47, v48                             // 00000000368C: D2A20032 0002612F
	v_cvt_off_f32_i4_sdwa v47, v46 dst_sel:DWORD dst_unused:UNUSED_PRESERVE src0_sel:BYTE_1// 000000003694: 7E5E1CF9 0001162E
	v_cvt_off_f32_i4_sdwa v48, v46 dst_sel:DWORD dst_unused:UNUSED_PRESERVE src0_sel:BYTE_3// 00000000369C: 7E601CF9 0003162E
	v_cvt_pk_fp8_f32 v51, v47, v48                             // 0000000036A4: D2A20033 0002612F
	v_lshrrev_b32_e32 v49, 4, v46                              // 0000000036AC: 20625C84
	v_cvt_off_f32_i4_e32 v47, v49                              // 0000000036B0: 7E5E1D31
	v_cvt_off_f32_i4_sdwa v48, v49 dst_sel:DWORD dst_unused:UNUSED_PRESERVE src0_sel:BYTE_2// 0000000036B4: 7E601CF9 00021631
	v_cvt_pk_fp8_f32 v50, v47, v48 op_sel:[0,0,1]              // 0000000036BC: D2A24032 0002612F
	v_cvt_off_f32_i4_sdwa v47, v49 dst_sel:DWORD dst_unused:UNUSED_PRESERVE src0_sel:BYTE_1// 0000000036C4: 7E5E1CF9 00011631
	v_cvt_off_f32_i4_sdwa v48, v49 dst_sel:DWORD dst_unused:UNUSED_PRESERVE src0_sel:BYTE_3// 0000000036CC: 7E601CF9 00031631
	v_cvt_pk_fp8_f32 v51, v47, v48 op_sel:[0,0,1]              // 0000000036D4: D2A24033 0002612F
	v_accvgpr_write_b32 a10, v50                               // 0000000036DC: D3D9400A 18000132
	v_accvgpr_write_b32 a11, v51                               // 0000000036E4: D3D9400B 18000133
	s_nop 3                                                    // 0000000036EC: BF800003
	v_mfma_f32_16x16x32_fp8_fp8 v[128:131], a[10:11], v[170:171], v[128:131]// 0000000036F0: D3F30080 0E03550A
	v_accvgpr_read_b32 v46, a38                                // 0000000036F8: D3D8402E 18000126
	v_cvt_off_f32_i4_e32 v47, v46                              // 000000003700: 7E5E1D2E
	v_cvt_off_f32_i4_sdwa v48, v46 dst_sel:DWORD dst_unused:UNUSED_PRESERVE src0_sel:BYTE_2// 000000003704: 7E601CF9 0002162E
	v_cvt_pk_fp8_f32 v50, v47, v48                             // 00000000370C: D2A20032 0002612F
	v_cvt_off_f32_i4_sdwa v47, v46 dst_sel:DWORD dst_unused:UNUSED_PRESERVE src0_sel:BYTE_1// 000000003714: 7E5E1CF9 0001162E
	v_cvt_off_f32_i4_sdwa v48, v46 dst_sel:DWORD dst_unused:UNUSED_PRESERVE src0_sel:BYTE_3// 00000000371C: 7E601CF9 0003162E
	v_cvt_pk_fp8_f32 v51, v47, v48                             // 000000003724: D2A20033 0002612F
	v_lshrrev_b32_e32 v49, 4, v46                              // 00000000372C: 20625C84
	v_cvt_off_f32_i4_e32 v47, v49                              // 000000003730: 7E5E1D31
	v_cvt_off_f32_i4_sdwa v48, v49 dst_sel:DWORD dst_unused:UNUSED_PRESERVE src0_sel:BYTE_2// 000000003734: 7E601CF9 00021631
	v_cvt_pk_fp8_f32 v50, v47, v48 op_sel:[0,0,1]              // 00000000373C: D2A24032 0002612F
	v_cvt_off_f32_i4_sdwa v47, v49 dst_sel:DWORD dst_unused:UNUSED_PRESERVE src0_sel:BYTE_1// 000000003744: 7E5E1CF9 00011631
	v_cvt_off_f32_i4_sdwa v48, v49 dst_sel:DWORD dst_unused:UNUSED_PRESERVE src0_sel:BYTE_3// 00000000374C: 7E601CF9 00031631
	v_cvt_pk_fp8_f32 v51, v47, v48 op_sel:[0,0,1]              // 000000003754: D2A24033 0002612F
	v_accvgpr_write_b32 a12, v50                               // 00000000375C: D3D9400C 18000132
	v_accvgpr_write_b32 a13, v51                               // 000000003764: D3D9400D 18000133
	s_nop 3                                                    // 00000000376C: BF800003
	v_mfma_f32_16x16x32_fp8_fp8 v[128:131], a[12:13], v[172:173], v[128:131]// 000000003770: D3F30080 0E03590C
	v_accvgpr_read_b32 v46, a39                                // 000000003778: D3D8402E 18000127
	v_cvt_off_f32_i4_e32 v47, v46                              // 000000003780: 7E5E1D2E
	v_cvt_off_f32_i4_sdwa v48, v46 dst_sel:DWORD dst_unused:UNUSED_PRESERVE src0_sel:BYTE_2// 000000003784: 7E601CF9 0002162E
	v_cvt_pk_fp8_f32 v50, v47, v48                             // 00000000378C: D2A20032 0002612F
	v_cvt_off_f32_i4_sdwa v47, v46 dst_sel:DWORD dst_unused:UNUSED_PRESERVE src0_sel:BYTE_1// 000000003794: 7E5E1CF9 0001162E
	v_cvt_off_f32_i4_sdwa v48, v46 dst_sel:DWORD dst_unused:UNUSED_PRESERVE src0_sel:BYTE_3// 00000000379C: 7E601CF9 0003162E
	v_cvt_pk_fp8_f32 v51, v47, v48                             // 0000000037A4: D2A20033 0002612F
	v_lshrrev_b32_e32 v49, 4, v46                              // 0000000037AC: 20625C84
	v_cvt_off_f32_i4_e32 v47, v49                              // 0000000037B0: 7E5E1D31
	v_cvt_off_f32_i4_sdwa v48, v49 dst_sel:DWORD dst_unused:UNUSED_PRESERVE src0_sel:BYTE_2// 0000000037B4: 7E601CF9 00021631
	v_cvt_pk_fp8_f32 v50, v47, v48 op_sel:[0,0,1]              // 0000000037BC: D2A24032 0002612F
	v_cvt_off_f32_i4_sdwa v47, v49 dst_sel:DWORD dst_unused:UNUSED_PRESERVE src0_sel:BYTE_1// 0000000037C4: 7E5E1CF9 00011631
	v_cvt_off_f32_i4_sdwa v48, v49 dst_sel:DWORD dst_unused:UNUSED_PRESERVE src0_sel:BYTE_3// 0000000037CC: 7E601CF9 00031631
	v_cvt_pk_fp8_f32 v51, v47, v48 op_sel:[0,0,1]              // 0000000037D4: D2A24033 0002612F
	v_accvgpr_write_b32 a14, v50                               // 0000000037DC: D3D9400E 18000132
	v_accvgpr_write_b32 a15, v51                               // 0000000037E4: D3D9400F 18000133
	s_nop 3                                                    // 0000000037EC: BF800003
	v_mfma_f32_16x16x32_fp8_fp8 v[128:131], a[14:15], v[174:175], v[128:131]// 0000000037F0: D3F30080 0E035D0E
	buffer_load_dword v25, s[20:23], 0 offen lds               // 0000000037F8: E0511000 80050019
	s_add_u32 m0, 0x200, s51                                   // 000000003800: 807C33FF 00000200
	v_mfma_f32_16x16x32_fp8_fp8 v[132:135], a[0:1], v[176:177], v[132:135]// 000000003808: D3F30084 0E136100
	v_mfma_f32_16x16x32_fp8_fp8 v[132:135], a[2:3], v[178:179], v[132:135]// 000000003810: D3F30084 0E136502
	buffer_load_dwordx4 a[100:103], v32, s[92:95], 0 offen offset:1024// 000000003818: E05C1400 80976420
	v_mfma_f32_16x16x32_fp8_fp8 v[132:135], a[4:5], v[180:181], v[132:135]// 000000003820: D3F30084 0E136904
	v_mfma_f32_16x16x32_fp8_fp8 v[132:135], a[6:7], v[182:183], v[132:135]// 000000003828: D3F30084 0E136D06
	buffer_load_dword v26, s[20:23], 0 offen lds               // 000000003830: E0511000 8005001A
	s_add_u32 m0, 0x300, s51                                   // 000000003838: 807C33FF 00000300
	v_mfma_f32_16x16x32_fp8_fp8 v[132:135], a[8:9], v[184:185], v[132:135]// 000000003840: D3F30084 0E137108
	v_mfma_f32_16x16x32_fp8_fp8 v[132:135], a[10:11], v[186:187], v[132:135]// 000000003848: D3F30084 0E13750A
	v_mfma_f32_16x16x32_fp8_fp8 v[132:135], a[12:13], v[188:189], v[132:135]// 000000003850: D3F30084 0E13790C
	v_mfma_f32_16x16x32_fp8_fp8 v[132:135], a[14:15], v[190:191], v[132:135]// 000000003858: D3F30084 0E137D0E
	buffer_load_dword v27, s[20:23], 0 offen lds               // 000000003860: E0511000 8005001B
	s_add_u32 m0, 0x400, s51                                   // 000000003868: 807C33FF 00000400
	v_accvgpr_read_b32 v46, a40                                // 000000003870: D3D8402E 18000128
	v_cvt_off_f32_i4_e32 v47, v46                              // 000000003878: 7E5E1D2E
	v_cvt_off_f32_i4_sdwa v48, v46 dst_sel:DWORD dst_unused:UNUSED_PRESERVE src0_sel:BYTE_2// 00000000387C: 7E601CF9 0002162E
	v_cvt_pk_fp8_f32 v50, v47, v48                             // 000000003884: D2A20032 0002612F
	v_cvt_off_f32_i4_sdwa v47, v46 dst_sel:DWORD dst_unused:UNUSED_PRESERVE src0_sel:BYTE_1// 00000000388C: 7E5E1CF9 0001162E
	v_cvt_off_f32_i4_sdwa v48, v46 dst_sel:DWORD dst_unused:UNUSED_PRESERVE src0_sel:BYTE_3// 000000003894: 7E601CF9 0003162E
	v_cvt_pk_fp8_f32 v51, v47, v48                             // 00000000389C: D2A20033 0002612F
	v_lshrrev_b32_e32 v49, 4, v46                              // 0000000038A4: 20625C84
	v_cvt_off_f32_i4_e32 v47, v49                              // 0000000038A8: 7E5E1D31
	v_cvt_off_f32_i4_sdwa v48, v49 dst_sel:DWORD dst_unused:UNUSED_PRESERVE src0_sel:BYTE_2// 0000000038AC: 7E601CF9 00021631
	v_cvt_pk_fp8_f32 v50, v47, v48 op_sel:[0,0,1]              // 0000000038B4: D2A24032 0002612F
	v_cvt_off_f32_i4_sdwa v47, v49 dst_sel:DWORD dst_unused:UNUSED_PRESERVE src0_sel:BYTE_1// 0000000038BC: 7E5E1CF9 00011631
	v_cvt_off_f32_i4_sdwa v48, v49 dst_sel:DWORD dst_unused:UNUSED_PRESERVE src0_sel:BYTE_3// 0000000038C4: 7E601CF9 00031631
	v_cvt_pk_fp8_f32 v51, v47, v48 op_sel:[0,0,1]              // 0000000038CC: D2A24033 0002612F
	v_accvgpr_write_b32 a16, v50                               // 0000000038D4: D3D94010 18000132
	v_accvgpr_write_b32 a17, v51                               // 0000000038DC: D3D94011 18000133
	s_nop 3                                                    // 0000000038E4: BF800003
	v_mfma_f32_16x16x32_fp8_fp8 v[136:139], a[16:17], v[160:161], v[136:139]// 0000000038E8: D3F30088 0E234110
	v_accvgpr_read_b32 v46, a41                                // 0000000038F0: D3D8402E 18000129
	v_cvt_off_f32_i4_e32 v47, v46                              // 0000000038F8: 7E5E1D2E
	v_cvt_off_f32_i4_sdwa v48, v46 dst_sel:DWORD dst_unused:UNUSED_PRESERVE src0_sel:BYTE_2// 0000000038FC: 7E601CF9 0002162E
	v_cvt_pk_fp8_f32 v50, v47, v48                             // 000000003904: D2A20032 0002612F
	v_cvt_off_f32_i4_sdwa v47, v46 dst_sel:DWORD dst_unused:UNUSED_PRESERVE src0_sel:BYTE_1// 00000000390C: 7E5E1CF9 0001162E
	v_cvt_off_f32_i4_sdwa v48, v46 dst_sel:DWORD dst_unused:UNUSED_PRESERVE src0_sel:BYTE_3// 000000003914: 7E601CF9 0003162E
	v_cvt_pk_fp8_f32 v51, v47, v48                             // 00000000391C: D2A20033 0002612F
	v_lshrrev_b32_e32 v49, 4, v46                              // 000000003924: 20625C84
	v_cvt_off_f32_i4_e32 v47, v49                              // 000000003928: 7E5E1D31
	v_cvt_off_f32_i4_sdwa v48, v49 dst_sel:DWORD dst_unused:UNUSED_PRESERVE src0_sel:BYTE_2// 00000000392C: 7E601CF9 00021631
	v_cvt_pk_fp8_f32 v50, v47, v48 op_sel:[0,0,1]              // 000000003934: D2A24032 0002612F
	v_cvt_off_f32_i4_sdwa v47, v49 dst_sel:DWORD dst_unused:UNUSED_PRESERVE src0_sel:BYTE_1// 00000000393C: 7E5E1CF9 00011631
	v_cvt_off_f32_i4_sdwa v48, v49 dst_sel:DWORD dst_unused:UNUSED_PRESERVE src0_sel:BYTE_3// 000000003944: 7E601CF9 00031631
	v_cvt_pk_fp8_f32 v51, v47, v48 op_sel:[0,0,1]              // 00000000394C: D2A24033 0002612F
	v_accvgpr_write_b32 a18, v50                               // 000000003954: D3D94012 18000132
	v_accvgpr_write_b32 a19, v51                               // 00000000395C: D3D94013 18000133
	s_nop 3                                                    // 000000003964: BF800003
	v_mfma_f32_16x16x32_fp8_fp8 v[136:139], a[18:19], v[162:163], v[136:139]// 000000003968: D3F30088 0E234512
	buffer_load_dwordx4 a[104:107], v33, s[92:95], 0 offen     // 000000003970: E05C1000 80976821
	v_accvgpr_read_b32 v46, a42                                // 000000003978: D3D8402E 1800012A
	v_cvt_off_f32_i4_e32 v47, v46                              // 000000003980: 7E5E1D2E
	v_cvt_off_f32_i4_sdwa v48, v46 dst_sel:DWORD dst_unused:UNUSED_PRESERVE src0_sel:BYTE_2// 000000003984: 7E601CF9 0002162E
	v_cvt_pk_fp8_f32 v50, v47, v48                             // 00000000398C: D2A20032 0002612F
	v_cvt_off_f32_i4_sdwa v47, v46 dst_sel:DWORD dst_unused:UNUSED_PRESERVE src0_sel:BYTE_1// 000000003994: 7E5E1CF9 0001162E
	v_cvt_off_f32_i4_sdwa v48, v46 dst_sel:DWORD dst_unused:UNUSED_PRESERVE src0_sel:BYTE_3// 00000000399C: 7E601CF9 0003162E
	v_cvt_pk_fp8_f32 v51, v47, v48                             // 0000000039A4: D2A20033 0002612F
	v_lshrrev_b32_e32 v49, 4, v46                              // 0000000039AC: 20625C84
	v_cvt_off_f32_i4_e32 v47, v49                              // 0000000039B0: 7E5E1D31
	v_cvt_off_f32_i4_sdwa v48, v49 dst_sel:DWORD dst_unused:UNUSED_PRESERVE src0_sel:BYTE_2// 0000000039B4: 7E601CF9 00021631
	v_cvt_pk_fp8_f32 v50, v47, v48 op_sel:[0,0,1]              // 0000000039BC: D2A24032 0002612F
	v_cvt_off_f32_i4_sdwa v47, v49 dst_sel:DWORD dst_unused:UNUSED_PRESERVE src0_sel:BYTE_1// 0000000039C4: 7E5E1CF9 00011631
	v_cvt_off_f32_i4_sdwa v48, v49 dst_sel:DWORD dst_unused:UNUSED_PRESERVE src0_sel:BYTE_3// 0000000039CC: 7E601CF9 00031631
	v_cvt_pk_fp8_f32 v51, v47, v48 op_sel:[0,0,1]              // 0000000039D4: D2A24033 0002612F
	v_accvgpr_write_b32 a20, v50                               // 0000000039DC: D3D94014 18000132
	v_accvgpr_write_b32 a21, v51                               // 0000000039E4: D3D94015 18000133
	s_nop 3                                                    // 0000000039EC: BF800003
	v_mfma_f32_16x16x32_fp8_fp8 v[136:139], a[20:21], v[164:165], v[136:139]// 0000000039F0: D3F30088 0E234914
	v_accvgpr_read_b32 v46, a43                                // 0000000039F8: D3D8402E 1800012B
	v_cvt_off_f32_i4_e32 v47, v46                              // 000000003A00: 7E5E1D2E
	v_cvt_off_f32_i4_sdwa v48, v46 dst_sel:DWORD dst_unused:UNUSED_PRESERVE src0_sel:BYTE_2// 000000003A04: 7E601CF9 0002162E
	v_cvt_pk_fp8_f32 v50, v47, v48                             // 000000003A0C: D2A20032 0002612F
	v_cvt_off_f32_i4_sdwa v47, v46 dst_sel:DWORD dst_unused:UNUSED_PRESERVE src0_sel:BYTE_1// 000000003A14: 7E5E1CF9 0001162E
	v_cvt_off_f32_i4_sdwa v48, v46 dst_sel:DWORD dst_unused:UNUSED_PRESERVE src0_sel:BYTE_3// 000000003A1C: 7E601CF9 0003162E
	v_cvt_pk_fp8_f32 v51, v47, v48                             // 000000003A24: D2A20033 0002612F
	v_lshrrev_b32_e32 v49, 4, v46                              // 000000003A2C: 20625C84
	v_cvt_off_f32_i4_e32 v47, v49                              // 000000003A30: 7E5E1D31
	v_cvt_off_f32_i4_sdwa v48, v49 dst_sel:DWORD dst_unused:UNUSED_PRESERVE src0_sel:BYTE_2// 000000003A34: 7E601CF9 00021631
	v_cvt_pk_fp8_f32 v50, v47, v48 op_sel:[0,0,1]              // 000000003A3C: D2A24032 0002612F
	v_cvt_off_f32_i4_sdwa v47, v49 dst_sel:DWORD dst_unused:UNUSED_PRESERVE src0_sel:BYTE_1// 000000003A44: 7E5E1CF9 00011631
	v_cvt_off_f32_i4_sdwa v48, v49 dst_sel:DWORD dst_unused:UNUSED_PRESERVE src0_sel:BYTE_3// 000000003A4C: 7E601CF9 00031631
	v_cvt_pk_fp8_f32 v51, v47, v48 op_sel:[0,0,1]              // 000000003A54: D2A24033 0002612F
	v_accvgpr_write_b32 a22, v50                               // 000000003A5C: D3D94016 18000132
	v_accvgpr_write_b32 a23, v51                               // 000000003A64: D3D94017 18000133
	s_nop 3                                                    // 000000003A6C: BF800003
	v_mfma_f32_16x16x32_fp8_fp8 v[136:139], a[22:23], v[166:167], v[136:139]// 000000003A70: D3F30088 0E234D16
	buffer_load_dword v28, s[20:23], 0 offen lds               // 000000003A78: E0511000 8005001C
	s_add_u32 m0, 0x500, s51                                   // 000000003A80: 807C33FF 00000500
	v_accvgpr_read_b32 v46, a44                                // 000000003A88: D3D8402E 1800012C
	v_cvt_off_f32_i4_e32 v47, v46                              // 000000003A90: 7E5E1D2E
	v_cvt_off_f32_i4_sdwa v48, v46 dst_sel:DWORD dst_unused:UNUSED_PRESERVE src0_sel:BYTE_2// 000000003A94: 7E601CF9 0002162E
	v_cvt_pk_fp8_f32 v50, v47, v48                             // 000000003A9C: D2A20032 0002612F
	v_cvt_off_f32_i4_sdwa v47, v46 dst_sel:DWORD dst_unused:UNUSED_PRESERVE src0_sel:BYTE_1// 000000003AA4: 7E5E1CF9 0001162E
	v_cvt_off_f32_i4_sdwa v48, v46 dst_sel:DWORD dst_unused:UNUSED_PRESERVE src0_sel:BYTE_3// 000000003AAC: 7E601CF9 0003162E
	v_cvt_pk_fp8_f32 v51, v47, v48                             // 000000003AB4: D2A20033 0002612F
	v_lshrrev_b32_e32 v49, 4, v46                              // 000000003ABC: 20625C84
	v_cvt_off_f32_i4_e32 v47, v49                              // 000000003AC0: 7E5E1D31
	v_cvt_off_f32_i4_sdwa v48, v49 dst_sel:DWORD dst_unused:UNUSED_PRESERVE src0_sel:BYTE_2// 000000003AC4: 7E601CF9 00021631
	v_cvt_pk_fp8_f32 v50, v47, v48 op_sel:[0,0,1]              // 000000003ACC: D2A24032 0002612F
	v_cvt_off_f32_i4_sdwa v47, v49 dst_sel:DWORD dst_unused:UNUSED_PRESERVE src0_sel:BYTE_1// 000000003AD4: 7E5E1CF9 00011631
	v_cvt_off_f32_i4_sdwa v48, v49 dst_sel:DWORD dst_unused:UNUSED_PRESERVE src0_sel:BYTE_3// 000000003ADC: 7E601CF9 00031631
	v_cvt_pk_fp8_f32 v51, v47, v48 op_sel:[0,0,1]              // 000000003AE4: D2A24033 0002612F
	v_accvgpr_write_b32 a24, v50                               // 000000003AEC: D3D94018 18000132
	v_accvgpr_write_b32 a25, v51                               // 000000003AF4: D3D94019 18000133
	s_nop 3                                                    // 000000003AFC: BF800003
	v_mfma_f32_16x16x32_fp8_fp8 v[136:139], a[24:25], v[168:169], v[136:139]// 000000003B00: D3F30088 0E235118
	v_accvgpr_read_b32 v46, a45                                // 000000003B08: D3D8402E 1800012D
	v_cvt_off_f32_i4_e32 v47, v46                              // 000000003B10: 7E5E1D2E
	v_cvt_off_f32_i4_sdwa v48, v46 dst_sel:DWORD dst_unused:UNUSED_PRESERVE src0_sel:BYTE_2// 000000003B14: 7E601CF9 0002162E
	v_cvt_pk_fp8_f32 v50, v47, v48                             // 000000003B1C: D2A20032 0002612F
	v_cvt_off_f32_i4_sdwa v47, v46 dst_sel:DWORD dst_unused:UNUSED_PRESERVE src0_sel:BYTE_1// 000000003B24: 7E5E1CF9 0001162E
	v_cvt_off_f32_i4_sdwa v48, v46 dst_sel:DWORD dst_unused:UNUSED_PRESERVE src0_sel:BYTE_3// 000000003B2C: 7E601CF9 0003162E
	v_cvt_pk_fp8_f32 v51, v47, v48                             // 000000003B34: D2A20033 0002612F
	v_lshrrev_b32_e32 v49, 4, v46                              // 000000003B3C: 20625C84
	v_cvt_off_f32_i4_e32 v47, v49                              // 000000003B40: 7E5E1D31
	v_cvt_off_f32_i4_sdwa v48, v49 dst_sel:DWORD dst_unused:UNUSED_PRESERVE src0_sel:BYTE_2// 000000003B44: 7E601CF9 00021631
	v_cvt_pk_fp8_f32 v50, v47, v48 op_sel:[0,0,1]              // 000000003B4C: D2A24032 0002612F
	v_cvt_off_f32_i4_sdwa v47, v49 dst_sel:DWORD dst_unused:UNUSED_PRESERVE src0_sel:BYTE_1// 000000003B54: 7E5E1CF9 00011631
	v_cvt_off_f32_i4_sdwa v48, v49 dst_sel:DWORD dst_unused:UNUSED_PRESERVE src0_sel:BYTE_3// 000000003B5C: 7E601CF9 00031631
	v_cvt_pk_fp8_f32 v51, v47, v48 op_sel:[0,0,1]              // 000000003B64: D2A24033 0002612F
	v_accvgpr_write_b32 a26, v50                               // 000000003B6C: D3D9401A 18000132
	v_accvgpr_write_b32 a27, v51                               // 000000003B74: D3D9401B 18000133
	s_nop 3                                                    // 000000003B7C: BF800003
	v_mfma_f32_16x16x32_fp8_fp8 v[136:139], a[26:27], v[170:171], v[136:139]// 000000003B80: D3F30088 0E23551A
	v_accvgpr_read_b32 v46, a46                                // 000000003B88: D3D8402E 1800012E
	v_cvt_off_f32_i4_e32 v47, v46                              // 000000003B90: 7E5E1D2E
	v_cvt_off_f32_i4_sdwa v48, v46 dst_sel:DWORD dst_unused:UNUSED_PRESERVE src0_sel:BYTE_2// 000000003B94: 7E601CF9 0002162E
	v_cvt_pk_fp8_f32 v50, v47, v48                             // 000000003B9C: D2A20032 0002612F
	v_cvt_off_f32_i4_sdwa v47, v46 dst_sel:DWORD dst_unused:UNUSED_PRESERVE src0_sel:BYTE_1// 000000003BA4: 7E5E1CF9 0001162E
	v_cvt_off_f32_i4_sdwa v48, v46 dst_sel:DWORD dst_unused:UNUSED_PRESERVE src0_sel:BYTE_3// 000000003BAC: 7E601CF9 0003162E
	v_cvt_pk_fp8_f32 v51, v47, v48                             // 000000003BB4: D2A20033 0002612F
	v_lshrrev_b32_e32 v49, 4, v46                              // 000000003BBC: 20625C84
	v_cvt_off_f32_i4_e32 v47, v49                              // 000000003BC0: 7E5E1D31
	v_cvt_off_f32_i4_sdwa v48, v49 dst_sel:DWORD dst_unused:UNUSED_PRESERVE src0_sel:BYTE_2// 000000003BC4: 7E601CF9 00021631
	v_cvt_pk_fp8_f32 v50, v47, v48 op_sel:[0,0,1]              // 000000003BCC: D2A24032 0002612F
	v_cvt_off_f32_i4_sdwa v47, v49 dst_sel:DWORD dst_unused:UNUSED_PRESERVE src0_sel:BYTE_1// 000000003BD4: 7E5E1CF9 00011631
	v_cvt_off_f32_i4_sdwa v48, v49 dst_sel:DWORD dst_unused:UNUSED_PRESERVE src0_sel:BYTE_3// 000000003BDC: 7E601CF9 00031631
	v_cvt_pk_fp8_f32 v51, v47, v48 op_sel:[0,0,1]              // 000000003BE4: D2A24033 0002612F
	v_accvgpr_write_b32 a28, v50                               // 000000003BEC: D3D9401C 18000132
	v_accvgpr_write_b32 a29, v51                               // 000000003BF4: D3D9401D 18000133
	s_nop 3                                                    // 000000003BFC: BF800003
	v_mfma_f32_16x16x32_fp8_fp8 v[136:139], a[28:29], v[172:173], v[136:139]// 000000003C00: D3F30088 0E23591C
	v_accvgpr_read_b32 v46, a47                                // 000000003C08: D3D8402E 1800012F
	v_cvt_off_f32_i4_e32 v47, v46                              // 000000003C10: 7E5E1D2E
	v_cvt_off_f32_i4_sdwa v48, v46 dst_sel:DWORD dst_unused:UNUSED_PRESERVE src0_sel:BYTE_2// 000000003C14: 7E601CF9 0002162E
	v_cvt_pk_fp8_f32 v50, v47, v48                             // 000000003C1C: D2A20032 0002612F
	v_cvt_off_f32_i4_sdwa v47, v46 dst_sel:DWORD dst_unused:UNUSED_PRESERVE src0_sel:BYTE_1// 000000003C24: 7E5E1CF9 0001162E
	v_cvt_off_f32_i4_sdwa v48, v46 dst_sel:DWORD dst_unused:UNUSED_PRESERVE src0_sel:BYTE_3// 000000003C2C: 7E601CF9 0003162E
	v_cvt_pk_fp8_f32 v51, v47, v48                             // 000000003C34: D2A20033 0002612F
	v_lshrrev_b32_e32 v49, 4, v46                              // 000000003C3C: 20625C84
	v_cvt_off_f32_i4_e32 v47, v49                              // 000000003C40: 7E5E1D31
	v_cvt_off_f32_i4_sdwa v48, v49 dst_sel:DWORD dst_unused:UNUSED_PRESERVE src0_sel:BYTE_2// 000000003C44: 7E601CF9 00021631
	v_cvt_pk_fp8_f32 v50, v47, v48 op_sel:[0,0,1]              // 000000003C4C: D2A24032 0002612F
	v_cvt_off_f32_i4_sdwa v47, v49 dst_sel:DWORD dst_unused:UNUSED_PRESERVE src0_sel:BYTE_1// 000000003C54: 7E5E1CF9 00011631
	v_cvt_off_f32_i4_sdwa v48, v49 dst_sel:DWORD dst_unused:UNUSED_PRESERVE src0_sel:BYTE_3// 000000003C5C: 7E601CF9 00031631
	v_cvt_pk_fp8_f32 v51, v47, v48 op_sel:[0,0,1]              // 000000003C64: D2A24033 0002612F
	v_accvgpr_write_b32 a30, v50                               // 000000003C6C: D3D9401E 18000132
	v_accvgpr_write_b32 a31, v51                               // 000000003C74: D3D9401F 18000133
	s_nop 3                                                    // 000000003C7C: BF800003
	v_mfma_f32_16x16x32_fp8_fp8 v[136:139], a[30:31], v[174:175], v[136:139]// 000000003C80: D3F30088 0E235D1E
	buffer_load_dword v29, s[20:23], 0 offen lds               // 000000003C88: E0511000 8005001D
	s_add_u32 m0, 0x600, s51                                   // 000000003C90: 807C33FF 00000600
	v_mfma_f32_16x16x32_fp8_fp8 v[140:143], a[16:17], v[176:177], v[140:143]// 000000003C98: D3F3008C 0E336110
	v_mfma_f32_16x16x32_fp8_fp8 v[140:143], a[18:19], v[178:179], v[140:143]// 000000003CA0: D3F3008C 0E336512
	buffer_load_dwordx4 a[108:111], v33, s[92:95], 0 offen offset:1024// 000000003CA8: E05C1400 80976C21
	v_mfma_f32_16x16x32_fp8_fp8 v[140:143], a[20:21], v[180:181], v[140:143]// 000000003CB0: D3F3008C 0E336914
	v_mfma_f32_16x16x32_fp8_fp8 v[140:143], a[22:23], v[182:183], v[140:143]// 000000003CB8: D3F3008C 0E336D16
	buffer_load_dword v30, s[20:23], 0 offen lds               // 000000003CC0: E0511000 8005001E
	s_add_u32 m0, 0x700, s51                                   // 000000003CC8: 807C33FF 00000700
	v_mfma_f32_16x16x32_fp8_fp8 v[140:143], a[24:25], v[184:185], v[140:143]// 000000003CD0: D3F3008C 0E337118
	v_mfma_f32_16x16x32_fp8_fp8 v[140:143], a[26:27], v[186:187], v[140:143]// 000000003CD8: D3F3008C 0E33751A
	v_mfma_f32_16x16x32_fp8_fp8 v[140:143], a[28:29], v[188:189], v[140:143]// 000000003CE0: D3F3008C 0E33791C
	v_mfma_f32_16x16x32_fp8_fp8 v[140:143], a[30:31], v[190:191], v[140:143]// 000000003CE8: D3F3008C 0E337D1E
	buffer_load_dword v31, s[20:23], 0 offen lds               // 000000003CF0: E0511000 8005001F
	s_add_u32 m0, 0, s50                                       // 000000003CF8: 807C3280
	s_waitcnt vmcnt(14)                                        // 000000003CFC: BF8C0F7E
	v_accvgpr_read_b32 v46, a48                                // 000000003D00: D3D8402E 18000130
	v_cvt_off_f32_i4_e32 v47, v46                              // 000000003D08: 7E5E1D2E
	v_cvt_off_f32_i4_sdwa v48, v46 dst_sel:DWORD dst_unused:UNUSED_PRESERVE src0_sel:BYTE_2// 000000003D0C: 7E601CF9 0002162E
	v_cvt_pk_fp8_f32 v50, v47, v48                             // 000000003D14: D2A20032 0002612F
	v_cvt_off_f32_i4_sdwa v47, v46 dst_sel:DWORD dst_unused:UNUSED_PRESERVE src0_sel:BYTE_1// 000000003D1C: 7E5E1CF9 0001162E
	v_cvt_off_f32_i4_sdwa v48, v46 dst_sel:DWORD dst_unused:UNUSED_PRESERVE src0_sel:BYTE_3// 000000003D24: 7E601CF9 0003162E
	v_cvt_pk_fp8_f32 v51, v47, v48                             // 000000003D2C: D2A20033 0002612F
	v_lshrrev_b32_e32 v49, 4, v46                              // 000000003D34: 20625C84
	v_cvt_off_f32_i4_e32 v47, v49                              // 000000003D38: 7E5E1D31
	v_cvt_off_f32_i4_sdwa v48, v49 dst_sel:DWORD dst_unused:UNUSED_PRESERVE src0_sel:BYTE_2// 000000003D3C: 7E601CF9 00021631
	v_cvt_pk_fp8_f32 v50, v47, v48 op_sel:[0,0,1]              // 000000003D44: D2A24032 0002612F
	v_cvt_off_f32_i4_sdwa v47, v49 dst_sel:DWORD dst_unused:UNUSED_PRESERVE src0_sel:BYTE_1// 000000003D4C: 7E5E1CF9 00011631
	v_cvt_off_f32_i4_sdwa v48, v49 dst_sel:DWORD dst_unused:UNUSED_PRESERVE src0_sel:BYTE_3// 000000003D54: 7E601CF9 00031631
	v_cvt_pk_fp8_f32 v51, v47, v48 op_sel:[0,0,1]              // 000000003D5C: D2A24033 0002612F
	v_accvgpr_write_b32 a32, v50                               // 000000003D64: D3D94020 18000132
	v_accvgpr_write_b32 a33, v51                               // 000000003D6C: D3D94021 18000133
	s_nop 3                                                    // 000000003D74: BF800003
	v_mfma_f32_16x16x32_fp8_fp8 v[144:147], a[32:33], v[160:161], v[144:147]// 000000003D78: D3F30090 0E434120
	v_accvgpr_read_b32 v46, a49                                // 000000003D80: D3D8402E 18000131
	v_cvt_off_f32_i4_e32 v47, v46                              // 000000003D88: 7E5E1D2E
	v_cvt_off_f32_i4_sdwa v48, v46 dst_sel:DWORD dst_unused:UNUSED_PRESERVE src0_sel:BYTE_2// 000000003D8C: 7E601CF9 0002162E
	v_cvt_pk_fp8_f32 v50, v47, v48                             // 000000003D94: D2A20032 0002612F
	v_cvt_off_f32_i4_sdwa v47, v46 dst_sel:DWORD dst_unused:UNUSED_PRESERVE src0_sel:BYTE_1// 000000003D9C: 7E5E1CF9 0001162E
	v_cvt_off_f32_i4_sdwa v48, v46 dst_sel:DWORD dst_unused:UNUSED_PRESERVE src0_sel:BYTE_3// 000000003DA4: 7E601CF9 0003162E
	v_cvt_pk_fp8_f32 v51, v47, v48                             // 000000003DAC: D2A20033 0002612F
	v_lshrrev_b32_e32 v49, 4, v46                              // 000000003DB4: 20625C84
	v_cvt_off_f32_i4_e32 v47, v49                              // 000000003DB8: 7E5E1D31
	v_cvt_off_f32_i4_sdwa v48, v49 dst_sel:DWORD dst_unused:UNUSED_PRESERVE src0_sel:BYTE_2// 000000003DBC: 7E601CF9 00021631
	v_cvt_pk_fp8_f32 v50, v47, v48 op_sel:[0,0,1]              // 000000003DC4: D2A24032 0002612F
	v_cvt_off_f32_i4_sdwa v47, v49 dst_sel:DWORD dst_unused:UNUSED_PRESERVE src0_sel:BYTE_1// 000000003DCC: 7E5E1CF9 00011631
	v_cvt_off_f32_i4_sdwa v48, v49 dst_sel:DWORD dst_unused:UNUSED_PRESERVE src0_sel:BYTE_3// 000000003DD4: 7E601CF9 00031631
	v_cvt_pk_fp8_f32 v51, v47, v48 op_sel:[0,0,1]              // 000000003DDC: D2A24033 0002612F
	v_accvgpr_write_b32 a34, v50                               // 000000003DE4: D3D94022 18000132
	v_accvgpr_write_b32 a35, v51                               // 000000003DEC: D3D94023 18000133
	s_nop 3                                                    // 000000003DF4: BF800003
	v_mfma_f32_16x16x32_fp8_fp8 v[144:147], a[34:35], v[162:163], v[144:147]// 000000003DF8: D3F30090 0E434522
	buffer_load_dwordx4 a[112:115], v34, s[92:95], 0 offen     // 000000003E00: E05C1000 80977022
	v_accvgpr_read_b32 v46, a50                                // 000000003E08: D3D8402E 18000132
	v_cvt_off_f32_i4_e32 v47, v46                              // 000000003E10: 7E5E1D2E
	v_cvt_off_f32_i4_sdwa v48, v46 dst_sel:DWORD dst_unused:UNUSED_PRESERVE src0_sel:BYTE_2// 000000003E14: 7E601CF9 0002162E
	v_cvt_pk_fp8_f32 v50, v47, v48                             // 000000003E1C: D2A20032 0002612F
	v_cvt_off_f32_i4_sdwa v47, v46 dst_sel:DWORD dst_unused:UNUSED_PRESERVE src0_sel:BYTE_1// 000000003E24: 7E5E1CF9 0001162E
	v_cvt_off_f32_i4_sdwa v48, v46 dst_sel:DWORD dst_unused:UNUSED_PRESERVE src0_sel:BYTE_3// 000000003E2C: 7E601CF9 0003162E
	v_cvt_pk_fp8_f32 v51, v47, v48                             // 000000003E34: D2A20033 0002612F
	v_lshrrev_b32_e32 v49, 4, v46                              // 000000003E3C: 20625C84
	v_cvt_off_f32_i4_e32 v47, v49                              // 000000003E40: 7E5E1D31
	v_cvt_off_f32_i4_sdwa v48, v49 dst_sel:DWORD dst_unused:UNUSED_PRESERVE src0_sel:BYTE_2// 000000003E44: 7E601CF9 00021631
	v_cvt_pk_fp8_f32 v50, v47, v48 op_sel:[0,0,1]              // 000000003E4C: D2A24032 0002612F
	v_cvt_off_f32_i4_sdwa v47, v49 dst_sel:DWORD dst_unused:UNUSED_PRESERVE src0_sel:BYTE_1// 000000003E54: 7E5E1CF9 00011631
	v_cvt_off_f32_i4_sdwa v48, v49 dst_sel:DWORD dst_unused:UNUSED_PRESERVE src0_sel:BYTE_3// 000000003E5C: 7E601CF9 00031631
	v_cvt_pk_fp8_f32 v51, v47, v48 op_sel:[0,0,1]              // 000000003E64: D2A24033 0002612F
	v_accvgpr_write_b32 a36, v50                               // 000000003E6C: D3D94024 18000132
	v_accvgpr_write_b32 a37, v51                               // 000000003E74: D3D94025 18000133
	s_nop 3                                                    // 000000003E7C: BF800003
	v_mfma_f32_16x16x32_fp8_fp8 v[144:147], a[36:37], v[164:165], v[144:147]// 000000003E80: D3F30090 0E434924
	v_accvgpr_read_b32 v46, a51                                // 000000003E88: D3D8402E 18000133
	v_cvt_off_f32_i4_e32 v47, v46                              // 000000003E90: 7E5E1D2E
	v_cvt_off_f32_i4_sdwa v48, v46 dst_sel:DWORD dst_unused:UNUSED_PRESERVE src0_sel:BYTE_2// 000000003E94: 7E601CF9 0002162E
	v_cvt_pk_fp8_f32 v50, v47, v48                             // 000000003E9C: D2A20032 0002612F
	v_cvt_off_f32_i4_sdwa v47, v46 dst_sel:DWORD dst_unused:UNUSED_PRESERVE src0_sel:BYTE_1// 000000003EA4: 7E5E1CF9 0001162E
	v_cvt_off_f32_i4_sdwa v48, v46 dst_sel:DWORD dst_unused:UNUSED_PRESERVE src0_sel:BYTE_3// 000000003EAC: 7E601CF9 0003162E
	v_cvt_pk_fp8_f32 v51, v47, v48                             // 000000003EB4: D2A20033 0002612F
	v_lshrrev_b32_e32 v49, 4, v46                              // 000000003EBC: 20625C84
	v_cvt_off_f32_i4_e32 v47, v49                              // 000000003EC0: 7E5E1D31
	v_cvt_off_f32_i4_sdwa v48, v49 dst_sel:DWORD dst_unused:UNUSED_PRESERVE src0_sel:BYTE_2// 000000003EC4: 7E601CF9 00021631
	v_cvt_pk_fp8_f32 v50, v47, v48 op_sel:[0,0,1]              // 000000003ECC: D2A24032 0002612F
	v_cvt_off_f32_i4_sdwa v47, v49 dst_sel:DWORD dst_unused:UNUSED_PRESERVE src0_sel:BYTE_1// 000000003ED4: 7E5E1CF9 00011631
	v_cvt_off_f32_i4_sdwa v48, v49 dst_sel:DWORD dst_unused:UNUSED_PRESERVE src0_sel:BYTE_3// 000000003EDC: 7E601CF9 00031631
	v_cvt_pk_fp8_f32 v51, v47, v48 op_sel:[0,0,1]              // 000000003EE4: D2A24033 0002612F
	v_accvgpr_write_b32 a38, v50                               // 000000003EEC: D3D94026 18000132
	v_accvgpr_write_b32 a39, v51                               // 000000003EF4: D3D94027 18000133
	s_nop 3                                                    // 000000003EFC: BF800003
	v_mfma_f32_16x16x32_fp8_fp8 v[144:147], a[38:39], v[166:167], v[144:147]// 000000003F00: D3F30090 0E434D26
	v_accvgpr_read_b32 v46, a52                                // 000000003F08: D3D8402E 18000134
	v_cvt_off_f32_i4_e32 v47, v46                              // 000000003F10: 7E5E1D2E
	v_cvt_off_f32_i4_sdwa v48, v46 dst_sel:DWORD dst_unused:UNUSED_PRESERVE src0_sel:BYTE_2// 000000003F14: 7E601CF9 0002162E
	v_cvt_pk_fp8_f32 v50, v47, v48                             // 000000003F1C: D2A20032 0002612F
	v_cvt_off_f32_i4_sdwa v47, v46 dst_sel:DWORD dst_unused:UNUSED_PRESERVE src0_sel:BYTE_1// 000000003F24: 7E5E1CF9 0001162E
	v_cvt_off_f32_i4_sdwa v48, v46 dst_sel:DWORD dst_unused:UNUSED_PRESERVE src0_sel:BYTE_3// 000000003F2C: 7E601CF9 0003162E
	v_cvt_pk_fp8_f32 v51, v47, v48                             // 000000003F34: D2A20033 0002612F
	v_lshrrev_b32_e32 v49, 4, v46                              // 000000003F3C: 20625C84
	v_cvt_off_f32_i4_e32 v47, v49                              // 000000003F40: 7E5E1D31
	v_cvt_off_f32_i4_sdwa v48, v49 dst_sel:DWORD dst_unused:UNUSED_PRESERVE src0_sel:BYTE_2// 000000003F44: 7E601CF9 00021631
	v_cvt_pk_fp8_f32 v50, v47, v48 op_sel:[0,0,1]              // 000000003F4C: D2A24032 0002612F
	v_cvt_off_f32_i4_sdwa v47, v49 dst_sel:DWORD dst_unused:UNUSED_PRESERVE src0_sel:BYTE_1// 000000003F54: 7E5E1CF9 00011631
	v_cvt_off_f32_i4_sdwa v48, v49 dst_sel:DWORD dst_unused:UNUSED_PRESERVE src0_sel:BYTE_3// 000000003F5C: 7E601CF9 00031631
	v_cvt_pk_fp8_f32 v51, v47, v48 op_sel:[0,0,1]              // 000000003F64: D2A24033 0002612F
	v_accvgpr_write_b32 a40, v50                               // 000000003F6C: D3D94028 18000132
	v_accvgpr_write_b32 a41, v51                               // 000000003F74: D3D94029 18000133
	s_nop 3                                                    // 000000003F7C: BF800003
	v_mfma_f32_16x16x32_fp8_fp8 v[144:147], a[40:41], v[168:169], v[144:147]// 000000003F80: D3F30090 0E435128
	v_accvgpr_read_b32 v46, a53                                // 000000003F88: D3D8402E 18000135
	v_cvt_off_f32_i4_e32 v47, v46                              // 000000003F90: 7E5E1D2E
	v_cvt_off_f32_i4_sdwa v48, v46 dst_sel:DWORD dst_unused:UNUSED_PRESERVE src0_sel:BYTE_2// 000000003F94: 7E601CF9 0002162E
	v_cvt_pk_fp8_f32 v50, v47, v48                             // 000000003F9C: D2A20032 0002612F
	v_cvt_off_f32_i4_sdwa v47, v46 dst_sel:DWORD dst_unused:UNUSED_PRESERVE src0_sel:BYTE_1// 000000003FA4: 7E5E1CF9 0001162E
	v_cvt_off_f32_i4_sdwa v48, v46 dst_sel:DWORD dst_unused:UNUSED_PRESERVE src0_sel:BYTE_3// 000000003FAC: 7E601CF9 0003162E
	v_cvt_pk_fp8_f32 v51, v47, v48                             // 000000003FB4: D2A20033 0002612F
	v_lshrrev_b32_e32 v49, 4, v46                              // 000000003FBC: 20625C84
	v_cvt_off_f32_i4_e32 v47, v49                              // 000000003FC0: 7E5E1D31
	v_cvt_off_f32_i4_sdwa v48, v49 dst_sel:DWORD dst_unused:UNUSED_PRESERVE src0_sel:BYTE_2// 000000003FC4: 7E601CF9 00021631
	v_cvt_pk_fp8_f32 v50, v47, v48 op_sel:[0,0,1]              // 000000003FCC: D2A24032 0002612F
	v_cvt_off_f32_i4_sdwa v47, v49 dst_sel:DWORD dst_unused:UNUSED_PRESERVE src0_sel:BYTE_1// 000000003FD4: 7E5E1CF9 00011631
	v_cvt_off_f32_i4_sdwa v48, v49 dst_sel:DWORD dst_unused:UNUSED_PRESERVE src0_sel:BYTE_3// 000000003FDC: 7E601CF9 00031631
	v_cvt_pk_fp8_f32 v51, v47, v48 op_sel:[0,0,1]              // 000000003FE4: D2A24033 0002612F
	v_accvgpr_write_b32 a42, v50                               // 000000003FEC: D3D9402A 18000132
	v_accvgpr_write_b32 a43, v51                               // 000000003FF4: D3D9402B 18000133
	s_nop 3                                                    // 000000003FFC: BF800003
	v_mfma_f32_16x16x32_fp8_fp8 v[144:147], a[42:43], v[170:171], v[144:147]// 000000004000: D3F30090 0E43552A
	v_accvgpr_read_b32 v46, a54                                // 000000004008: D3D8402E 18000136
	v_cvt_off_f32_i4_e32 v47, v46                              // 000000004010: 7E5E1D2E
	v_cvt_off_f32_i4_sdwa v48, v46 dst_sel:DWORD dst_unused:UNUSED_PRESERVE src0_sel:BYTE_2// 000000004014: 7E601CF9 0002162E
	v_cvt_pk_fp8_f32 v50, v47, v48                             // 00000000401C: D2A20032 0002612F
	v_cvt_off_f32_i4_sdwa v47, v46 dst_sel:DWORD dst_unused:UNUSED_PRESERVE src0_sel:BYTE_1// 000000004024: 7E5E1CF9 0001162E
	v_cvt_off_f32_i4_sdwa v48, v46 dst_sel:DWORD dst_unused:UNUSED_PRESERVE src0_sel:BYTE_3// 00000000402C: 7E601CF9 0003162E
	v_cvt_pk_fp8_f32 v51, v47, v48                             // 000000004034: D2A20033 0002612F
	v_lshrrev_b32_e32 v49, 4, v46                              // 00000000403C: 20625C84
	v_cvt_off_f32_i4_e32 v47, v49                              // 000000004040: 7E5E1D31
	v_cvt_off_f32_i4_sdwa v48, v49 dst_sel:DWORD dst_unused:UNUSED_PRESERVE src0_sel:BYTE_2// 000000004044: 7E601CF9 00021631
	v_cvt_pk_fp8_f32 v50, v47, v48 op_sel:[0,0,1]              // 00000000404C: D2A24032 0002612F
	v_cvt_off_f32_i4_sdwa v47, v49 dst_sel:DWORD dst_unused:UNUSED_PRESERVE src0_sel:BYTE_1// 000000004054: 7E5E1CF9 00011631
	v_cvt_off_f32_i4_sdwa v48, v49 dst_sel:DWORD dst_unused:UNUSED_PRESERVE src0_sel:BYTE_3// 00000000405C: 7E601CF9 00031631
	v_cvt_pk_fp8_f32 v51, v47, v48 op_sel:[0,0,1]              // 000000004064: D2A24033 0002612F
	v_accvgpr_write_b32 a44, v50                               // 00000000406C: D3D9402C 18000132
	v_accvgpr_write_b32 a45, v51                               // 000000004074: D3D9402D 18000133
	s_nop 3                                                    // 00000000407C: BF800003
	v_mfma_f32_16x16x32_fp8_fp8 v[144:147], a[44:45], v[172:173], v[144:147]// 000000004080: D3F30090 0E43592C
	v_accvgpr_read_b32 v46, a55                                // 000000004088: D3D8402E 18000137
	v_cvt_off_f32_i4_e32 v47, v46                              // 000000004090: 7E5E1D2E
	v_cvt_off_f32_i4_sdwa v48, v46 dst_sel:DWORD dst_unused:UNUSED_PRESERVE src0_sel:BYTE_2// 000000004094: 7E601CF9 0002162E
	v_cvt_pk_fp8_f32 v50, v47, v48                             // 00000000409C: D2A20032 0002612F
	v_cvt_off_f32_i4_sdwa v47, v46 dst_sel:DWORD dst_unused:UNUSED_PRESERVE src0_sel:BYTE_1// 0000000040A4: 7E5E1CF9 0001162E
	v_cvt_off_f32_i4_sdwa v48, v46 dst_sel:DWORD dst_unused:UNUSED_PRESERVE src0_sel:BYTE_3// 0000000040AC: 7E601CF9 0003162E
	v_cvt_pk_fp8_f32 v51, v47, v48                             // 0000000040B4: D2A20033 0002612F
	v_lshrrev_b32_e32 v49, 4, v46                              // 0000000040BC: 20625C84
	v_cvt_off_f32_i4_e32 v47, v49                              // 0000000040C0: 7E5E1D31
	v_cvt_off_f32_i4_sdwa v48, v49 dst_sel:DWORD dst_unused:UNUSED_PRESERVE src0_sel:BYTE_2// 0000000040C4: 7E601CF9 00021631
	v_cvt_pk_fp8_f32 v50, v47, v48 op_sel:[0,0,1]              // 0000000040CC: D2A24032 0002612F
	v_cvt_off_f32_i4_sdwa v47, v49 dst_sel:DWORD dst_unused:UNUSED_PRESERVE src0_sel:BYTE_1// 0000000040D4: 7E5E1CF9 00011631
	v_cvt_off_f32_i4_sdwa v48, v49 dst_sel:DWORD dst_unused:UNUSED_PRESERVE src0_sel:BYTE_3// 0000000040DC: 7E601CF9 00031631
	v_cvt_pk_fp8_f32 v51, v47, v48 op_sel:[0,0,1]              // 0000000040E4: D2A24033 0002612F
	v_accvgpr_write_b32 a46, v50                               // 0000000040EC: D3D9402E 18000132
	v_accvgpr_write_b32 a47, v51                               // 0000000040F4: D3D9402F 18000133
	s_nop 3                                                    // 0000000040FC: BF800003
	v_mfma_f32_16x16x32_fp8_fp8 v[144:147], a[46:47], v[174:175], v[144:147]// 000000004100: D3F30090 0E435D2E
	v_mfma_f32_16x16x32_fp8_fp8 v[148:151], a[32:33], v[176:177], v[148:151]// 000000004108: D3F30094 0E536120
	v_mfma_f32_16x16x32_fp8_fp8 v[148:151], a[34:35], v[178:179], v[148:151]// 000000004110: D3F30094 0E536522
	buffer_load_dwordx4 a[116:119], v34, s[92:95], 0 offen offset:1024// 000000004118: E05C1400 80977422
	v_mfma_f32_16x16x32_fp8_fp8 v[148:151], a[36:37], v[180:181], v[148:151]// 000000004120: D3F30094 0E536924
	v_mfma_f32_16x16x32_fp8_fp8 v[148:151], a[38:39], v[182:183], v[148:151]// 000000004128: D3F30094 0E536D26
	v_mfma_f32_16x16x32_fp8_fp8 v[148:151], a[40:41], v[184:185], v[148:151]// 000000004130: D3F30094 0E537128
	v_mfma_f32_16x16x32_fp8_fp8 v[148:151], a[42:43], v[186:187], v[148:151]// 000000004138: D3F30094 0E53752A
	v_mfma_f32_16x16x32_fp8_fp8 v[148:151], a[44:45], v[188:189], v[148:151]// 000000004140: D3F30094 0E53792C
	v_mfma_f32_16x16x32_fp8_fp8 v[148:151], a[46:47], v[190:191], v[148:151]// 000000004148: D3F30094 0E537D2E
	s_waitcnt vmcnt(14)                                        // 000000004150: BF8C0F7E
	v_accvgpr_read_b32 v46, a56                                // 000000004154: D3D8402E 18000138
	v_cvt_off_f32_i4_e32 v47, v46                              // 00000000415C: 7E5E1D2E
	v_cvt_off_f32_i4_sdwa v48, v46 dst_sel:DWORD dst_unused:UNUSED_PRESERVE src0_sel:BYTE_2// 000000004160: 7E601CF9 0002162E
	v_cvt_pk_fp8_f32 v50, v47, v48                             // 000000004168: D2A20032 0002612F
	v_cvt_off_f32_i4_sdwa v47, v46 dst_sel:DWORD dst_unused:UNUSED_PRESERVE src0_sel:BYTE_1// 000000004170: 7E5E1CF9 0001162E
	v_cvt_off_f32_i4_sdwa v48, v46 dst_sel:DWORD dst_unused:UNUSED_PRESERVE src0_sel:BYTE_3// 000000004178: 7E601CF9 0003162E
	v_cvt_pk_fp8_f32 v51, v47, v48                             // 000000004180: D2A20033 0002612F
	v_lshrrev_b32_e32 v49, 4, v46                              // 000000004188: 20625C84
	v_cvt_off_f32_i4_e32 v47, v49                              // 00000000418C: 7E5E1D31
	v_cvt_off_f32_i4_sdwa v48, v49 dst_sel:DWORD dst_unused:UNUSED_PRESERVE src0_sel:BYTE_2// 000000004190: 7E601CF9 00021631
	v_cvt_pk_fp8_f32 v50, v47, v48 op_sel:[0,0,1]              // 000000004198: D2A24032 0002612F
	v_cvt_off_f32_i4_sdwa v47, v49 dst_sel:DWORD dst_unused:UNUSED_PRESERVE src0_sel:BYTE_1// 0000000041A0: 7E5E1CF9 00011631
	v_cvt_off_f32_i4_sdwa v48, v49 dst_sel:DWORD dst_unused:UNUSED_PRESERVE src0_sel:BYTE_3// 0000000041A8: 7E601CF9 00031631
	v_cvt_pk_fp8_f32 v51, v47, v48 op_sel:[0,0,1]              // 0000000041B0: D2A24033 0002612F
	v_accvgpr_write_b32 a48, v50                               // 0000000041B8: D3D94030 18000132
	v_accvgpr_write_b32 a49, v51                               // 0000000041C0: D3D94031 18000133
	s_nop 3                                                    // 0000000041C8: BF800003
	v_mfma_f32_16x16x32_fp8_fp8 v[152:155], a[48:49], v[160:161], v[152:155]// 0000000041CC: D3F30098 0E634130
	v_accvgpr_read_b32 v46, a57                                // 0000000041D4: D3D8402E 18000139
	v_cvt_off_f32_i4_e32 v47, v46                              // 0000000041DC: 7E5E1D2E
	v_cvt_off_f32_i4_sdwa v48, v46 dst_sel:DWORD dst_unused:UNUSED_PRESERVE src0_sel:BYTE_2// 0000000041E0: 7E601CF9 0002162E
	v_cvt_pk_fp8_f32 v50, v47, v48                             // 0000000041E8: D2A20032 0002612F
	v_cvt_off_f32_i4_sdwa v47, v46 dst_sel:DWORD dst_unused:UNUSED_PRESERVE src0_sel:BYTE_1// 0000000041F0: 7E5E1CF9 0001162E
	v_cvt_off_f32_i4_sdwa v48, v46 dst_sel:DWORD dst_unused:UNUSED_PRESERVE src0_sel:BYTE_3// 0000000041F8: 7E601CF9 0003162E
	v_cvt_pk_fp8_f32 v51, v47, v48                             // 000000004200: D2A20033 0002612F
	v_lshrrev_b32_e32 v49, 4, v46                              // 000000004208: 20625C84
	v_cvt_off_f32_i4_e32 v47, v49                              // 00000000420C: 7E5E1D31
	v_cvt_off_f32_i4_sdwa v48, v49 dst_sel:DWORD dst_unused:UNUSED_PRESERVE src0_sel:BYTE_2// 000000004210: 7E601CF9 00021631
	v_cvt_pk_fp8_f32 v50, v47, v48 op_sel:[0,0,1]              // 000000004218: D2A24032 0002612F
	v_cvt_off_f32_i4_sdwa v47, v49 dst_sel:DWORD dst_unused:UNUSED_PRESERVE src0_sel:BYTE_1// 000000004220: 7E5E1CF9 00011631
	v_cvt_off_f32_i4_sdwa v48, v49 dst_sel:DWORD dst_unused:UNUSED_PRESERVE src0_sel:BYTE_3// 000000004228: 7E601CF9 00031631
	v_cvt_pk_fp8_f32 v51, v47, v48 op_sel:[0,0,1]              // 000000004230: D2A24033 0002612F
	v_accvgpr_write_b32 a50, v50                               // 000000004238: D3D94032 18000132
	v_accvgpr_write_b32 a51, v51                               // 000000004240: D3D94033 18000133
	s_nop 3                                                    // 000000004248: BF800003
	v_mfma_f32_16x16x32_fp8_fp8 v[152:155], a[50:51], v[162:163], v[152:155]// 00000000424C: D3F30098 0E634532
	buffer_load_dwordx4 a[120:123], v35, s[92:95], 0 offen     // 000000004254: E05C1000 80977823
	v_accvgpr_read_b32 v46, a58                                // 00000000425C: D3D8402E 1800013A
	v_cvt_off_f32_i4_e32 v47, v46                              // 000000004264: 7E5E1D2E
	v_cvt_off_f32_i4_sdwa v48, v46 dst_sel:DWORD dst_unused:UNUSED_PRESERVE src0_sel:BYTE_2// 000000004268: 7E601CF9 0002162E
	v_cvt_pk_fp8_f32 v50, v47, v48                             // 000000004270: D2A20032 0002612F
	v_cvt_off_f32_i4_sdwa v47, v46 dst_sel:DWORD dst_unused:UNUSED_PRESERVE src0_sel:BYTE_1// 000000004278: 7E5E1CF9 0001162E
	v_cvt_off_f32_i4_sdwa v48, v46 dst_sel:DWORD dst_unused:UNUSED_PRESERVE src0_sel:BYTE_3// 000000004280: 7E601CF9 0003162E
	v_cvt_pk_fp8_f32 v51, v47, v48                             // 000000004288: D2A20033 0002612F
	v_lshrrev_b32_e32 v49, 4, v46                              // 000000004290: 20625C84
	v_cvt_off_f32_i4_e32 v47, v49                              // 000000004294: 7E5E1D31
	v_cvt_off_f32_i4_sdwa v48, v49 dst_sel:DWORD dst_unused:UNUSED_PRESERVE src0_sel:BYTE_2// 000000004298: 7E601CF9 00021631
	v_cvt_pk_fp8_f32 v50, v47, v48 op_sel:[0,0,1]              // 0000000042A0: D2A24032 0002612F
	v_cvt_off_f32_i4_sdwa v47, v49 dst_sel:DWORD dst_unused:UNUSED_PRESERVE src0_sel:BYTE_1// 0000000042A8: 7E5E1CF9 00011631
	v_cvt_off_f32_i4_sdwa v48, v49 dst_sel:DWORD dst_unused:UNUSED_PRESERVE src0_sel:BYTE_3// 0000000042B0: 7E601CF9 00031631
	v_cvt_pk_fp8_f32 v51, v47, v48 op_sel:[0,0,1]              // 0000000042B8: D2A24033 0002612F
	v_accvgpr_write_b32 a52, v50                               // 0000000042C0: D3D94034 18000132
	v_accvgpr_write_b32 a53, v51                               // 0000000042C8: D3D94035 18000133
	s_nop 3                                                    // 0000000042D0: BF800003
	v_mfma_f32_16x16x32_fp8_fp8 v[152:155], a[52:53], v[164:165], v[152:155]// 0000000042D4: D3F30098 0E634934
	v_accvgpr_read_b32 v46, a59                                // 0000000042DC: D3D8402E 1800013B
	v_cvt_off_f32_i4_e32 v47, v46                              // 0000000042E4: 7E5E1D2E
	v_cvt_off_f32_i4_sdwa v48, v46 dst_sel:DWORD dst_unused:UNUSED_PRESERVE src0_sel:BYTE_2// 0000000042E8: 7E601CF9 0002162E
	v_cvt_pk_fp8_f32 v50, v47, v48                             // 0000000042F0: D2A20032 0002612F
	v_cvt_off_f32_i4_sdwa v47, v46 dst_sel:DWORD dst_unused:UNUSED_PRESERVE src0_sel:BYTE_1// 0000000042F8: 7E5E1CF9 0001162E
	v_cvt_off_f32_i4_sdwa v48, v46 dst_sel:DWORD dst_unused:UNUSED_PRESERVE src0_sel:BYTE_3// 000000004300: 7E601CF9 0003162E
	v_cvt_pk_fp8_f32 v51, v47, v48                             // 000000004308: D2A20033 0002612F
	v_lshrrev_b32_e32 v49, 4, v46                              // 000000004310: 20625C84
	v_cvt_off_f32_i4_e32 v47, v49                              // 000000004314: 7E5E1D31
	v_cvt_off_f32_i4_sdwa v48, v49 dst_sel:DWORD dst_unused:UNUSED_PRESERVE src0_sel:BYTE_2// 000000004318: 7E601CF9 00021631
	v_cvt_pk_fp8_f32 v50, v47, v48 op_sel:[0,0,1]              // 000000004320: D2A24032 0002612F
	v_cvt_off_f32_i4_sdwa v47, v49 dst_sel:DWORD dst_unused:UNUSED_PRESERVE src0_sel:BYTE_1// 000000004328: 7E5E1CF9 00011631
	v_cvt_off_f32_i4_sdwa v48, v49 dst_sel:DWORD dst_unused:UNUSED_PRESERVE src0_sel:BYTE_3// 000000004330: 7E601CF9 00031631
	v_cvt_pk_fp8_f32 v51, v47, v48 op_sel:[0,0,1]              // 000000004338: D2A24033 0002612F
	v_accvgpr_write_b32 a54, v50                               // 000000004340: D3D94036 18000132
	v_accvgpr_write_b32 a55, v51                               // 000000004348: D3D94037 18000133
	s_nop 3                                                    // 000000004350: BF800003
	v_mfma_f32_16x16x32_fp8_fp8 v[152:155], a[54:55], v[166:167], v[152:155]// 000000004354: D3F30098 0E634D36
	v_accvgpr_read_b32 v46, a60                                // 00000000435C: D3D8402E 1800013C
	v_cvt_off_f32_i4_e32 v47, v46                              // 000000004364: 7E5E1D2E
	v_cvt_off_f32_i4_sdwa v48, v46 dst_sel:DWORD dst_unused:UNUSED_PRESERVE src0_sel:BYTE_2// 000000004368: 7E601CF9 0002162E
	v_cvt_pk_fp8_f32 v50, v47, v48                             // 000000004370: D2A20032 0002612F
	v_cvt_off_f32_i4_sdwa v47, v46 dst_sel:DWORD dst_unused:UNUSED_PRESERVE src0_sel:BYTE_1// 000000004378: 7E5E1CF9 0001162E
	v_cvt_off_f32_i4_sdwa v48, v46 dst_sel:DWORD dst_unused:UNUSED_PRESERVE src0_sel:BYTE_3// 000000004380: 7E601CF9 0003162E
	v_cvt_pk_fp8_f32 v51, v47, v48                             // 000000004388: D2A20033 0002612F
	v_lshrrev_b32_e32 v49, 4, v46                              // 000000004390: 20625C84
	v_cvt_off_f32_i4_e32 v47, v49                              // 000000004394: 7E5E1D31
	v_cvt_off_f32_i4_sdwa v48, v49 dst_sel:DWORD dst_unused:UNUSED_PRESERVE src0_sel:BYTE_2// 000000004398: 7E601CF9 00021631
	v_cvt_pk_fp8_f32 v50, v47, v48 op_sel:[0,0,1]              // 0000000043A0: D2A24032 0002612F
	v_cvt_off_f32_i4_sdwa v47, v49 dst_sel:DWORD dst_unused:UNUSED_PRESERVE src0_sel:BYTE_1// 0000000043A8: 7E5E1CF9 00011631
	v_cvt_off_f32_i4_sdwa v48, v49 dst_sel:DWORD dst_unused:UNUSED_PRESERVE src0_sel:BYTE_3// 0000000043B0: 7E601CF9 00031631
	v_cvt_pk_fp8_f32 v51, v47, v48 op_sel:[0,0,1]              // 0000000043B8: D2A24033 0002612F
	v_accvgpr_write_b32 a56, v50                               // 0000000043C0: D3D94038 18000132
	v_accvgpr_write_b32 a57, v51                               // 0000000043C8: D3D94039 18000133
	s_nop 3                                                    // 0000000043D0: BF800003
	v_mfma_f32_16x16x32_fp8_fp8 v[152:155], a[56:57], v[168:169], v[152:155]// 0000000043D4: D3F30098 0E635138
	v_accvgpr_read_b32 v46, a61                                // 0000000043DC: D3D8402E 1800013D
	v_cvt_off_f32_i4_e32 v47, v46                              // 0000000043E4: 7E5E1D2E
	v_cvt_off_f32_i4_sdwa v48, v46 dst_sel:DWORD dst_unused:UNUSED_PRESERVE src0_sel:BYTE_2// 0000000043E8: 7E601CF9 0002162E
	v_cvt_pk_fp8_f32 v50, v47, v48                             // 0000000043F0: D2A20032 0002612F
	v_cvt_off_f32_i4_sdwa v47, v46 dst_sel:DWORD dst_unused:UNUSED_PRESERVE src0_sel:BYTE_1// 0000000043F8: 7E5E1CF9 0001162E
	v_cvt_off_f32_i4_sdwa v48, v46 dst_sel:DWORD dst_unused:UNUSED_PRESERVE src0_sel:BYTE_3// 000000004400: 7E601CF9 0003162E
	v_cvt_pk_fp8_f32 v51, v47, v48                             // 000000004408: D2A20033 0002612F
	v_lshrrev_b32_e32 v49, 4, v46                              // 000000004410: 20625C84
	v_cvt_off_f32_i4_e32 v47, v49                              // 000000004414: 7E5E1D31
	v_cvt_off_f32_i4_sdwa v48, v49 dst_sel:DWORD dst_unused:UNUSED_PRESERVE src0_sel:BYTE_2// 000000004418: 7E601CF9 00021631
	v_cvt_pk_fp8_f32 v50, v47, v48 op_sel:[0,0,1]              // 000000004420: D2A24032 0002612F
	v_cvt_off_f32_i4_sdwa v47, v49 dst_sel:DWORD dst_unused:UNUSED_PRESERVE src0_sel:BYTE_1// 000000004428: 7E5E1CF9 00011631
	v_cvt_off_f32_i4_sdwa v48, v49 dst_sel:DWORD dst_unused:UNUSED_PRESERVE src0_sel:BYTE_3// 000000004430: 7E601CF9 00031631
	v_cvt_pk_fp8_f32 v51, v47, v48 op_sel:[0,0,1]              // 000000004438: D2A24033 0002612F
	v_accvgpr_write_b32 a58, v50                               // 000000004440: D3D9403A 18000132
	v_accvgpr_write_b32 a59, v51                               // 000000004448: D3D9403B 18000133
	s_nop 3                                                    // 000000004450: BF800003
	v_mfma_f32_16x16x32_fp8_fp8 v[152:155], a[58:59], v[170:171], v[152:155]// 000000004454: D3F30098 0E63553A
	v_accvgpr_read_b32 v46, a62                                // 00000000445C: D3D8402E 1800013E
	v_cvt_off_f32_i4_e32 v47, v46                              // 000000004464: 7E5E1D2E
	v_cvt_off_f32_i4_sdwa v48, v46 dst_sel:DWORD dst_unused:UNUSED_PRESERVE src0_sel:BYTE_2// 000000004468: 7E601CF9 0002162E
	v_cvt_pk_fp8_f32 v50, v47, v48                             // 000000004470: D2A20032 0002612F
	v_cvt_off_f32_i4_sdwa v47, v46 dst_sel:DWORD dst_unused:UNUSED_PRESERVE src0_sel:BYTE_1// 000000004478: 7E5E1CF9 0001162E
	v_cvt_off_f32_i4_sdwa v48, v46 dst_sel:DWORD dst_unused:UNUSED_PRESERVE src0_sel:BYTE_3// 000000004480: 7E601CF9 0003162E
	v_cvt_pk_fp8_f32 v51, v47, v48                             // 000000004488: D2A20033 0002612F
	v_lshrrev_b32_e32 v49, 4, v46                              // 000000004490: 20625C84
	v_cvt_off_f32_i4_e32 v47, v49                              // 000000004494: 7E5E1D31
	v_cvt_off_f32_i4_sdwa v48, v49 dst_sel:DWORD dst_unused:UNUSED_PRESERVE src0_sel:BYTE_2// 000000004498: 7E601CF9 00021631
	v_cvt_pk_fp8_f32 v50, v47, v48 op_sel:[0,0,1]              // 0000000044A0: D2A24032 0002612F
	v_cvt_off_f32_i4_sdwa v47, v49 dst_sel:DWORD dst_unused:UNUSED_PRESERVE src0_sel:BYTE_1// 0000000044A8: 7E5E1CF9 00011631
	v_cvt_off_f32_i4_sdwa v48, v49 dst_sel:DWORD dst_unused:UNUSED_PRESERVE src0_sel:BYTE_3// 0000000044B0: 7E601CF9 00031631
	v_cvt_pk_fp8_f32 v51, v47, v48 op_sel:[0,0,1]              // 0000000044B8: D2A24033 0002612F
	v_accvgpr_write_b32 a60, v50                               // 0000000044C0: D3D9403C 18000132
	v_accvgpr_write_b32 a61, v51                               // 0000000044C8: D3D9403D 18000133
	s_nop 3                                                    // 0000000044D0: BF800003
	v_mfma_f32_16x16x32_fp8_fp8 v[152:155], a[60:61], v[172:173], v[152:155]// 0000000044D4: D3F30098 0E63593C
	v_accvgpr_read_b32 v46, a63                                // 0000000044DC: D3D8402E 1800013F
	v_cvt_off_f32_i4_e32 v47, v46                              // 0000000044E4: 7E5E1D2E
	v_cvt_off_f32_i4_sdwa v48, v46 dst_sel:DWORD dst_unused:UNUSED_PRESERVE src0_sel:BYTE_2// 0000000044E8: 7E601CF9 0002162E
	v_cvt_pk_fp8_f32 v50, v47, v48                             // 0000000044F0: D2A20032 0002612F
	v_cvt_off_f32_i4_sdwa v47, v46 dst_sel:DWORD dst_unused:UNUSED_PRESERVE src0_sel:BYTE_1// 0000000044F8: 7E5E1CF9 0001162E
	v_cvt_off_f32_i4_sdwa v48, v46 dst_sel:DWORD dst_unused:UNUSED_PRESERVE src0_sel:BYTE_3// 000000004500: 7E601CF9 0003162E
	v_cvt_pk_fp8_f32 v51, v47, v48                             // 000000004508: D2A20033 0002612F
	v_lshrrev_b32_e32 v49, 4, v46                              // 000000004510: 20625C84
	v_cvt_off_f32_i4_e32 v47, v49                              // 000000004514: 7E5E1D31
	v_cvt_off_f32_i4_sdwa v48, v49 dst_sel:DWORD dst_unused:UNUSED_PRESERVE src0_sel:BYTE_2// 000000004518: 7E601CF9 00021631
	v_cvt_pk_fp8_f32 v50, v47, v48 op_sel:[0,0,1]              // 000000004520: D2A24032 0002612F
	v_cvt_off_f32_i4_sdwa v47, v49 dst_sel:DWORD dst_unused:UNUSED_PRESERVE src0_sel:BYTE_1// 000000004528: 7E5E1CF9 00011631
	v_cvt_off_f32_i4_sdwa v48, v49 dst_sel:DWORD dst_unused:UNUSED_PRESERVE src0_sel:BYTE_3// 000000004530: 7E601CF9 00031631
	v_cvt_pk_fp8_f32 v51, v47, v48 op_sel:[0,0,1]              // 000000004538: D2A24033 0002612F
	v_accvgpr_write_b32 a62, v50                               // 000000004540: D3D9403E 18000132
	v_accvgpr_write_b32 a63, v51                               // 000000004548: D3D9403F 18000133
	s_nop 3                                                    // 000000004550: BF800003
	v_mfma_f32_16x16x32_fp8_fp8 v[152:155], a[62:63], v[174:175], v[152:155]// 000000004554: D3F30098 0E635D3E
	v_mfma_f32_16x16x32_fp8_fp8 v[156:159], a[48:49], v[176:177], v[156:159]// 00000000455C: D3F3009C 0E736130
	v_mfma_f32_16x16x32_fp8_fp8 v[156:159], a[50:51], v[178:179], v[156:159]// 000000004564: D3F3009C 0E736532
	buffer_load_dwordx4 a[124:127], v35, s[92:95], 0 offen offset:1024// 00000000456C: E05C1400 80977C23
	v_mfma_f32_16x16x32_fp8_fp8 v[156:159], a[52:53], v[180:181], v[156:159]// 000000004574: D3F3009C 0E736934
	v_mfma_f32_16x16x32_fp8_fp8 v[156:159], a[54:55], v[182:183], v[156:159]// 00000000457C: D3F3009C 0E736D36
	v_mfma_f32_16x16x32_fp8_fp8 v[156:159], a[56:57], v[184:185], v[156:159]// 000000004584: D3F3009C 0E737138
	v_mfma_f32_16x16x32_fp8_fp8 v[156:159], a[58:59], v[186:187], v[156:159]// 00000000458C: D3F3009C 0E73753A
	v_mfma_f32_16x16x32_fp8_fp8 v[156:159], a[60:61], v[188:189], v[156:159]// 000000004594: D3F3009C 0E73793C
	v_mfma_f32_16x16x32_fp8_fp8 v[156:159], a[62:63], v[190:191], v[156:159]// 00000000459C: D3F3009C 0E737D3E
	s_waitcnt vmcnt(4)                                         // 0000000045A4: BF8C0F74
	s_barrier                                                  // 0000000045A8: BF8A0000
	v_accvgpr_read_b32 v46, a96                                // 0000000045AC: D3D8402E 18000160
	v_cvt_off_f32_i4_e32 v47, v46                              // 0000000045B4: 7E5E1D2E
	v_cvt_off_f32_i4_sdwa v48, v46 dst_sel:DWORD dst_unused:UNUSED_PRESERVE src0_sel:BYTE_2// 0000000045B8: 7E601CF9 0002162E
	v_cvt_pk_fp8_f32 v50, v47, v48                             // 0000000045C0: D2A20032 0002612F
	v_cvt_off_f32_i4_sdwa v47, v46 dst_sel:DWORD dst_unused:UNUSED_PRESERVE src0_sel:BYTE_1// 0000000045C8: 7E5E1CF9 0001162E
	v_cvt_off_f32_i4_sdwa v48, v46 dst_sel:DWORD dst_unused:UNUSED_PRESERVE src0_sel:BYTE_3// 0000000045D0: 7E601CF9 0003162E
	v_cvt_pk_fp8_f32 v51, v47, v48                             // 0000000045D8: D2A20033 0002612F
	v_lshrrev_b32_e32 v49, 4, v46                              // 0000000045E0: 20625C84
	v_cvt_off_f32_i4_e32 v47, v49                              // 0000000045E4: 7E5E1D31
	v_cvt_off_f32_i4_sdwa v48, v49 dst_sel:DWORD dst_unused:UNUSED_PRESERVE src0_sel:BYTE_2// 0000000045E8: 7E601CF9 00021631
	v_cvt_pk_fp8_f32 v50, v47, v48 op_sel:[0,0,1]              // 0000000045F0: D2A24032 0002612F
	v_cvt_off_f32_i4_sdwa v47, v49 dst_sel:DWORD dst_unused:UNUSED_PRESERVE src0_sel:BYTE_1// 0000000045F8: 7E5E1CF9 00011631
	v_cvt_off_f32_i4_sdwa v48, v49 dst_sel:DWORD dst_unused:UNUSED_PRESERVE src0_sel:BYTE_3// 000000004600: 7E601CF9 00031631
	v_cvt_pk_fp8_f32 v51, v47, v48 op_sel:[0,0,1]              // 000000004608: D2A24033 0002612F
	v_accvgpr_write_b32 a64, v50                               // 000000004610: D3D94040 18000132
	v_accvgpr_write_b32 a65, v51                               // 000000004618: D3D94041 18000133
	s_nop 3                                                    // 000000004620: BF800003
	v_mfma_f32_16x16x32_fp8_fp8 v[64:67], a[64:65], v[160:161], v[64:67]// 000000004624: D3F30040 0D034140
	v_accvgpr_read_b32 v46, a97                                // 00000000462C: D3D8402E 18000161
	v_cvt_off_f32_i4_e32 v47, v46                              // 000000004634: 7E5E1D2E
	v_cvt_off_f32_i4_sdwa v48, v46 dst_sel:DWORD dst_unused:UNUSED_PRESERVE src0_sel:BYTE_2// 000000004638: 7E601CF9 0002162E
	v_cvt_pk_fp8_f32 v50, v47, v48                             // 000000004640: D2A20032 0002612F
	v_cvt_off_f32_i4_sdwa v47, v46 dst_sel:DWORD dst_unused:UNUSED_PRESERVE src0_sel:BYTE_1// 000000004648: 7E5E1CF9 0001162E
	v_cvt_off_f32_i4_sdwa v48, v46 dst_sel:DWORD dst_unused:UNUSED_PRESERVE src0_sel:BYTE_3// 000000004650: 7E601CF9 0003162E
	v_cvt_pk_fp8_f32 v51, v47, v48                             // 000000004658: D2A20033 0002612F
	v_lshrrev_b32_e32 v49, 4, v46                              // 000000004660: 20625C84
	v_cvt_off_f32_i4_e32 v47, v49                              // 000000004664: 7E5E1D31
	v_cvt_off_f32_i4_sdwa v48, v49 dst_sel:DWORD dst_unused:UNUSED_PRESERVE src0_sel:BYTE_2// 000000004668: 7E601CF9 00021631
	v_cvt_pk_fp8_f32 v50, v47, v48 op_sel:[0,0,1]              // 000000004670: D2A24032 0002612F
	v_cvt_off_f32_i4_sdwa v47, v49 dst_sel:DWORD dst_unused:UNUSED_PRESERVE src0_sel:BYTE_1// 000000004678: 7E5E1CF9 00011631
	v_cvt_off_f32_i4_sdwa v48, v49 dst_sel:DWORD dst_unused:UNUSED_PRESERVE src0_sel:BYTE_3// 000000004680: 7E601CF9 00031631
	v_cvt_pk_fp8_f32 v51, v47, v48 op_sel:[0,0,1]              // 000000004688: D2A24033 0002612F
	v_accvgpr_write_b32 a66, v50                               // 000000004690: D3D94042 18000132
	v_accvgpr_write_b32 a67, v51                               // 000000004698: D3D94043 18000133
	s_nop 3                                                    // 0000000046A0: BF800003
	v_mfma_f32_16x16x32_fp8_fp8 v[64:67], a[66:67], v[162:163], v[64:67]// 0000000046A4: D3F30040 0D034542
	buffer_load_dwordx4 a[32:35], v32, s[24:27], 0 offen       // 0000000046AC: E05C1000 80862020
	v_accvgpr_read_b32 v46, a98                                // 0000000046B4: D3D8402E 18000162
	v_cvt_off_f32_i4_e32 v47, v46                              // 0000000046BC: 7E5E1D2E
	v_cvt_off_f32_i4_sdwa v48, v46 dst_sel:DWORD dst_unused:UNUSED_PRESERVE src0_sel:BYTE_2// 0000000046C0: 7E601CF9 0002162E
	v_cvt_pk_fp8_f32 v50, v47, v48                             // 0000000046C8: D2A20032 0002612F
	v_cvt_off_f32_i4_sdwa v47, v46 dst_sel:DWORD dst_unused:UNUSED_PRESERVE src0_sel:BYTE_1// 0000000046D0: 7E5E1CF9 0001162E
	v_cvt_off_f32_i4_sdwa v48, v46 dst_sel:DWORD dst_unused:UNUSED_PRESERVE src0_sel:BYTE_3// 0000000046D8: 7E601CF9 0003162E
	v_cvt_pk_fp8_f32 v51, v47, v48                             // 0000000046E0: D2A20033 0002612F
	v_lshrrev_b32_e32 v49, 4, v46                              // 0000000046E8: 20625C84
	v_cvt_off_f32_i4_e32 v47, v49                              // 0000000046EC: 7E5E1D31
	v_cvt_off_f32_i4_sdwa v48, v49 dst_sel:DWORD dst_unused:UNUSED_PRESERVE src0_sel:BYTE_2// 0000000046F0: 7E601CF9 00021631
	v_cvt_pk_fp8_f32 v50, v47, v48 op_sel:[0,0,1]              // 0000000046F8: D2A24032 0002612F
	v_cvt_off_f32_i4_sdwa v47, v49 dst_sel:DWORD dst_unused:UNUSED_PRESERVE src0_sel:BYTE_1// 000000004700: 7E5E1CF9 00011631
	v_cvt_off_f32_i4_sdwa v48, v49 dst_sel:DWORD dst_unused:UNUSED_PRESERVE src0_sel:BYTE_3// 000000004708: 7E601CF9 00031631
	v_cvt_pk_fp8_f32 v51, v47, v48 op_sel:[0,0,1]              // 000000004710: D2A24033 0002612F
	v_accvgpr_write_b32 a68, v50                               // 000000004718: D3D94044 18000132
	v_accvgpr_write_b32 a69, v51                               // 000000004720: D3D94045 18000133
	s_nop 3                                                    // 000000004728: BF800003
	v_mfma_f32_16x16x32_fp8_fp8 v[64:67], a[68:69], v[164:165], v[64:67]// 00000000472C: D3F30040 0D034944
	v_accvgpr_read_b32 v46, a99                                // 000000004734: D3D8402E 18000163
	v_cvt_off_f32_i4_e32 v47, v46                              // 00000000473C: 7E5E1D2E
	v_cvt_off_f32_i4_sdwa v48, v46 dst_sel:DWORD dst_unused:UNUSED_PRESERVE src0_sel:BYTE_2// 000000004740: 7E601CF9 0002162E
	v_cvt_pk_fp8_f32 v50, v47, v48                             // 000000004748: D2A20032 0002612F
	v_cvt_off_f32_i4_sdwa v47, v46 dst_sel:DWORD dst_unused:UNUSED_PRESERVE src0_sel:BYTE_1// 000000004750: 7E5E1CF9 0001162E
	v_cvt_off_f32_i4_sdwa v48, v46 dst_sel:DWORD dst_unused:UNUSED_PRESERVE src0_sel:BYTE_3// 000000004758: 7E601CF9 0003162E
	v_cvt_pk_fp8_f32 v51, v47, v48                             // 000000004760: D2A20033 0002612F
	v_lshrrev_b32_e32 v49, 4, v46                              // 000000004768: 20625C84
	v_cvt_off_f32_i4_e32 v47, v49                              // 00000000476C: 7E5E1D31
	v_cvt_off_f32_i4_sdwa v48, v49 dst_sel:DWORD dst_unused:UNUSED_PRESERVE src0_sel:BYTE_2// 000000004770: 7E601CF9 00021631
	v_cvt_pk_fp8_f32 v50, v47, v48 op_sel:[0,0,1]              // 000000004778: D2A24032 0002612F
	v_cvt_off_f32_i4_sdwa v47, v49 dst_sel:DWORD dst_unused:UNUSED_PRESERVE src0_sel:BYTE_1// 000000004780: 7E5E1CF9 00011631
	v_cvt_off_f32_i4_sdwa v48, v49 dst_sel:DWORD dst_unused:UNUSED_PRESERVE src0_sel:BYTE_3// 000000004788: 7E601CF9 00031631
	v_cvt_pk_fp8_f32 v51, v47, v48 op_sel:[0,0,1]              // 000000004790: D2A24033 0002612F
	v_accvgpr_write_b32 a70, v50                               // 000000004798: D3D94046 18000132
	v_accvgpr_write_b32 a71, v51                               // 0000000047A0: D3D94047 18000133
	s_nop 3                                                    // 0000000047A8: BF800003
	v_mfma_f32_16x16x32_fp8_fp8 v[64:67], a[70:71], v[166:167], v[64:67]// 0000000047AC: D3F30040 0D034D46
	v_accvgpr_read_b32 v46, a100                               // 0000000047B4: D3D8402E 18000164
	v_cvt_off_f32_i4_e32 v47, v46                              // 0000000047BC: 7E5E1D2E
	v_cvt_off_f32_i4_sdwa v48, v46 dst_sel:DWORD dst_unused:UNUSED_PRESERVE src0_sel:BYTE_2// 0000000047C0: 7E601CF9 0002162E
	v_cvt_pk_fp8_f32 v50, v47, v48                             // 0000000047C8: D2A20032 0002612F
	v_cvt_off_f32_i4_sdwa v47, v46 dst_sel:DWORD dst_unused:UNUSED_PRESERVE src0_sel:BYTE_1// 0000000047D0: 7E5E1CF9 0001162E
	v_cvt_off_f32_i4_sdwa v48, v46 dst_sel:DWORD dst_unused:UNUSED_PRESERVE src0_sel:BYTE_3// 0000000047D8: 7E601CF9 0003162E
	v_cvt_pk_fp8_f32 v51, v47, v48                             // 0000000047E0: D2A20033 0002612F
	v_lshrrev_b32_e32 v49, 4, v46                              // 0000000047E8: 20625C84
	v_cvt_off_f32_i4_e32 v47, v49                              // 0000000047EC: 7E5E1D31
	v_cvt_off_f32_i4_sdwa v48, v49 dst_sel:DWORD dst_unused:UNUSED_PRESERVE src0_sel:BYTE_2// 0000000047F0: 7E601CF9 00021631
	v_cvt_pk_fp8_f32 v50, v47, v48 op_sel:[0,0,1]              // 0000000047F8: D2A24032 0002612F
	v_cvt_off_f32_i4_sdwa v47, v49 dst_sel:DWORD dst_unused:UNUSED_PRESERVE src0_sel:BYTE_1// 000000004800: 7E5E1CF9 00011631
	v_cvt_off_f32_i4_sdwa v48, v49 dst_sel:DWORD dst_unused:UNUSED_PRESERVE src0_sel:BYTE_3// 000000004808: 7E601CF9 00031631
	v_cvt_pk_fp8_f32 v51, v47, v48 op_sel:[0,0,1]              // 000000004810: D2A24033 0002612F
	v_accvgpr_write_b32 a72, v50                               // 000000004818: D3D94048 18000132
	v_accvgpr_write_b32 a73, v51                               // 000000004820: D3D94049 18000133
	s_nop 3                                                    // 000000004828: BF800003
	v_mfma_f32_16x16x32_fp8_fp8 v[64:67], a[72:73], v[168:169], v[64:67]// 00000000482C: D3F30040 0D035148
	v_accvgpr_read_b32 v46, a101                               // 000000004834: D3D8402E 18000165
	v_cvt_off_f32_i4_e32 v47, v46                              // 00000000483C: 7E5E1D2E
	v_cvt_off_f32_i4_sdwa v48, v46 dst_sel:DWORD dst_unused:UNUSED_PRESERVE src0_sel:BYTE_2// 000000004840: 7E601CF9 0002162E
	v_cvt_pk_fp8_f32 v50, v47, v48                             // 000000004848: D2A20032 0002612F
	v_cvt_off_f32_i4_sdwa v47, v46 dst_sel:DWORD dst_unused:UNUSED_PRESERVE src0_sel:BYTE_1// 000000004850: 7E5E1CF9 0001162E
	v_cvt_off_f32_i4_sdwa v48, v46 dst_sel:DWORD dst_unused:UNUSED_PRESERVE src0_sel:BYTE_3// 000000004858: 7E601CF9 0003162E
	v_cvt_pk_fp8_f32 v51, v47, v48                             // 000000004860: D2A20033 0002612F
	v_lshrrev_b32_e32 v49, 4, v46                              // 000000004868: 20625C84
	v_cvt_off_f32_i4_e32 v47, v49                              // 00000000486C: 7E5E1D31
	v_cvt_off_f32_i4_sdwa v48, v49 dst_sel:DWORD dst_unused:UNUSED_PRESERVE src0_sel:BYTE_2// 000000004870: 7E601CF9 00021631
	v_cvt_pk_fp8_f32 v50, v47, v48 op_sel:[0,0,1]              // 000000004878: D2A24032 0002612F
	v_cvt_off_f32_i4_sdwa v47, v49 dst_sel:DWORD dst_unused:UNUSED_PRESERVE src0_sel:BYTE_1// 000000004880: 7E5E1CF9 00011631
	v_cvt_off_f32_i4_sdwa v48, v49 dst_sel:DWORD dst_unused:UNUSED_PRESERVE src0_sel:BYTE_3// 000000004888: 7E601CF9 00031631
	v_cvt_pk_fp8_f32 v51, v47, v48 op_sel:[0,0,1]              // 000000004890: D2A24033 0002612F
	v_accvgpr_write_b32 a74, v50                               // 000000004898: D3D9404A 18000132
	v_accvgpr_write_b32 a75, v51                               // 0000000048A0: D3D9404B 18000133
	s_nop 3                                                    // 0000000048A8: BF800003
	v_mfma_f32_16x16x32_fp8_fp8 v[64:67], a[74:75], v[170:171], v[64:67]// 0000000048AC: D3F30040 0D03554A
	v_accvgpr_read_b32 v46, a102                               // 0000000048B4: D3D8402E 18000166
	v_cvt_off_f32_i4_e32 v47, v46                              // 0000000048BC: 7E5E1D2E
	v_cvt_off_f32_i4_sdwa v48, v46 dst_sel:DWORD dst_unused:UNUSED_PRESERVE src0_sel:BYTE_2// 0000000048C0: 7E601CF9 0002162E
	v_cvt_pk_fp8_f32 v50, v47, v48                             // 0000000048C8: D2A20032 0002612F
	v_cvt_off_f32_i4_sdwa v47, v46 dst_sel:DWORD dst_unused:UNUSED_PRESERVE src0_sel:BYTE_1// 0000000048D0: 7E5E1CF9 0001162E
	v_cvt_off_f32_i4_sdwa v48, v46 dst_sel:DWORD dst_unused:UNUSED_PRESERVE src0_sel:BYTE_3// 0000000048D8: 7E601CF9 0003162E
	v_cvt_pk_fp8_f32 v51, v47, v48                             // 0000000048E0: D2A20033 0002612F
	v_lshrrev_b32_e32 v49, 4, v46                              // 0000000048E8: 20625C84
	v_cvt_off_f32_i4_e32 v47, v49                              // 0000000048EC: 7E5E1D31
	v_cvt_off_f32_i4_sdwa v48, v49 dst_sel:DWORD dst_unused:UNUSED_PRESERVE src0_sel:BYTE_2// 0000000048F0: 7E601CF9 00021631
	v_cvt_pk_fp8_f32 v50, v47, v48 op_sel:[0,0,1]              // 0000000048F8: D2A24032 0002612F
	v_cvt_off_f32_i4_sdwa v47, v49 dst_sel:DWORD dst_unused:UNUSED_PRESERVE src0_sel:BYTE_1// 000000004900: 7E5E1CF9 00011631
	v_cvt_off_f32_i4_sdwa v48, v49 dst_sel:DWORD dst_unused:UNUSED_PRESERVE src0_sel:BYTE_3// 000000004908: 7E601CF9 00031631
	v_cvt_pk_fp8_f32 v51, v47, v48 op_sel:[0,0,1]              // 000000004910: D2A24033 0002612F
	v_accvgpr_write_b32 a76, v50                               // 000000004918: D3D9404C 18000132
	v_accvgpr_write_b32 a77, v51                               // 000000004920: D3D9404D 18000133
	s_nop 3                                                    // 000000004928: BF800003
	v_mfma_f32_16x16x32_fp8_fp8 v[64:67], a[76:77], v[172:173], v[64:67]// 00000000492C: D3F30040 0D03594C
	v_accvgpr_read_b32 v46, a103                               // 000000004934: D3D8402E 18000167
	v_cvt_off_f32_i4_e32 v47, v46                              // 00000000493C: 7E5E1D2E
	v_cvt_off_f32_i4_sdwa v48, v46 dst_sel:DWORD dst_unused:UNUSED_PRESERVE src0_sel:BYTE_2// 000000004940: 7E601CF9 0002162E
	v_cvt_pk_fp8_f32 v50, v47, v48                             // 000000004948: D2A20032 0002612F
	v_cvt_off_f32_i4_sdwa v47, v46 dst_sel:DWORD dst_unused:UNUSED_PRESERVE src0_sel:BYTE_1// 000000004950: 7E5E1CF9 0001162E
	v_cvt_off_f32_i4_sdwa v48, v46 dst_sel:DWORD dst_unused:UNUSED_PRESERVE src0_sel:BYTE_3// 000000004958: 7E601CF9 0003162E
	v_cvt_pk_fp8_f32 v51, v47, v48                             // 000000004960: D2A20033 0002612F
	v_lshrrev_b32_e32 v49, 4, v46                              // 000000004968: 20625C84
	v_cvt_off_f32_i4_e32 v47, v49                              // 00000000496C: 7E5E1D31
	v_cvt_off_f32_i4_sdwa v48, v49 dst_sel:DWORD dst_unused:UNUSED_PRESERVE src0_sel:BYTE_2// 000000004970: 7E601CF9 00021631
	v_cvt_pk_fp8_f32 v50, v47, v48 op_sel:[0,0,1]              // 000000004978: D2A24032 0002612F
	v_cvt_off_f32_i4_sdwa v47, v49 dst_sel:DWORD dst_unused:UNUSED_PRESERVE src0_sel:BYTE_1// 000000004980: 7E5E1CF9 00011631
	v_cvt_off_f32_i4_sdwa v48, v49 dst_sel:DWORD dst_unused:UNUSED_PRESERVE src0_sel:BYTE_3// 000000004988: 7E601CF9 00031631
	v_cvt_pk_fp8_f32 v51, v47, v48 op_sel:[0,0,1]              // 000000004990: D2A24033 0002612F
	v_accvgpr_write_b32 a78, v50                               // 000000004998: D3D9404E 18000132
	v_accvgpr_write_b32 a79, v51                               // 0000000049A0: D3D9404F 18000133
	s_nop 3                                                    // 0000000049A8: BF800003
	v_mfma_f32_16x16x32_fp8_fp8 v[64:67], a[78:79], v[174:175], v[64:67]// 0000000049AC: D3F30040 0D035D4E
	v_mfma_f32_16x16x32_fp8_fp8 v[68:71], a[64:65], v[176:177], v[68:71]// 0000000049B4: D3F30044 0D136140
	v_mfma_f32_16x16x32_fp8_fp8 v[68:71], a[66:67], v[178:179], v[68:71]// 0000000049BC: D3F30044 0D136542
	buffer_load_dwordx4 a[36:39], v32, s[24:27], 0 offen offset:1024// 0000000049C4: E05C1400 80862420
	v_mfma_f32_16x16x32_fp8_fp8 v[68:71], a[68:69], v[180:181], v[68:71]// 0000000049CC: D3F30044 0D136944
	v_mfma_f32_16x16x32_fp8_fp8 v[68:71], a[70:71], v[182:183], v[68:71]// 0000000049D4: D3F30044 0D136D46
	v_mfma_f32_16x16x32_fp8_fp8 v[68:71], a[72:73], v[184:185], v[68:71]// 0000000049DC: D3F30044 0D137148
	v_mfma_f32_16x16x32_fp8_fp8 v[68:71], a[74:75], v[186:187], v[68:71]// 0000000049E4: D3F30044 0D13754A
	v_mfma_f32_16x16x32_fp8_fp8 v[68:71], a[76:77], v[188:189], v[68:71]// 0000000049EC: D3F30044 0D13794C
	v_mfma_f32_16x16x32_fp8_fp8 v[68:71], a[78:79], v[190:191], v[68:71]// 0000000049F4: D3F30044 0D137D4E
	v_accvgpr_read_b32 v46, a104                               // 0000000049FC: D3D8402E 18000168
	v_cvt_off_f32_i4_e32 v47, v46                              // 000000004A04: 7E5E1D2E
	v_cvt_off_f32_i4_sdwa v48, v46 dst_sel:DWORD dst_unused:UNUSED_PRESERVE src0_sel:BYTE_2// 000000004A08: 7E601CF9 0002162E
	v_cvt_pk_fp8_f32 v50, v47, v48                             // 000000004A10: D2A20032 0002612F
	v_cvt_off_f32_i4_sdwa v47, v46 dst_sel:DWORD dst_unused:UNUSED_PRESERVE src0_sel:BYTE_1// 000000004A18: 7E5E1CF9 0001162E
	v_cvt_off_f32_i4_sdwa v48, v46 dst_sel:DWORD dst_unused:UNUSED_PRESERVE src0_sel:BYTE_3// 000000004A20: 7E601CF9 0003162E
	v_cvt_pk_fp8_f32 v51, v47, v48                             // 000000004A28: D2A20033 0002612F
	v_lshrrev_b32_e32 v49, 4, v46                              // 000000004A30: 20625C84
	v_cvt_off_f32_i4_e32 v47, v49                              // 000000004A34: 7E5E1D31
	v_cvt_off_f32_i4_sdwa v48, v49 dst_sel:DWORD dst_unused:UNUSED_PRESERVE src0_sel:BYTE_2// 000000004A38: 7E601CF9 00021631
	v_cvt_pk_fp8_f32 v50, v47, v48 op_sel:[0,0,1]              // 000000004A40: D2A24032 0002612F
	v_cvt_off_f32_i4_sdwa v47, v49 dst_sel:DWORD dst_unused:UNUSED_PRESERVE src0_sel:BYTE_1// 000000004A48: 7E5E1CF9 00011631
	v_cvt_off_f32_i4_sdwa v48, v49 dst_sel:DWORD dst_unused:UNUSED_PRESERVE src0_sel:BYTE_3// 000000004A50: 7E601CF9 00031631
	v_cvt_pk_fp8_f32 v51, v47, v48 op_sel:[0,0,1]              // 000000004A58: D2A24033 0002612F
	v_accvgpr_write_b32 a80, v50                               // 000000004A60: D3D94050 18000132
	v_accvgpr_write_b32 a81, v51                               // 000000004A68: D3D94051 18000133
	s_nop 3                                                    // 000000004A70: BF800003
	v_mfma_f32_16x16x32_fp8_fp8 v[72:75], a[80:81], v[160:161], v[72:75]// 000000004A74: D3F30048 0D234150
	v_accvgpr_read_b32 v46, a105                               // 000000004A7C: D3D8402E 18000169
	v_cvt_off_f32_i4_e32 v47, v46                              // 000000004A84: 7E5E1D2E
	v_cvt_off_f32_i4_sdwa v48, v46 dst_sel:DWORD dst_unused:UNUSED_PRESERVE src0_sel:BYTE_2// 000000004A88: 7E601CF9 0002162E
	v_cvt_pk_fp8_f32 v50, v47, v48                             // 000000004A90: D2A20032 0002612F
	v_cvt_off_f32_i4_sdwa v47, v46 dst_sel:DWORD dst_unused:UNUSED_PRESERVE src0_sel:BYTE_1// 000000004A98: 7E5E1CF9 0001162E
	v_cvt_off_f32_i4_sdwa v48, v46 dst_sel:DWORD dst_unused:UNUSED_PRESERVE src0_sel:BYTE_3// 000000004AA0: 7E601CF9 0003162E
	v_cvt_pk_fp8_f32 v51, v47, v48                             // 000000004AA8: D2A20033 0002612F
	v_lshrrev_b32_e32 v49, 4, v46                              // 000000004AB0: 20625C84
	v_cvt_off_f32_i4_e32 v47, v49                              // 000000004AB4: 7E5E1D31
	v_cvt_off_f32_i4_sdwa v48, v49 dst_sel:DWORD dst_unused:UNUSED_PRESERVE src0_sel:BYTE_2// 000000004AB8: 7E601CF9 00021631
	v_cvt_pk_fp8_f32 v50, v47, v48 op_sel:[0,0,1]              // 000000004AC0: D2A24032 0002612F
	v_cvt_off_f32_i4_sdwa v47, v49 dst_sel:DWORD dst_unused:UNUSED_PRESERVE src0_sel:BYTE_1// 000000004AC8: 7E5E1CF9 00011631
	v_cvt_off_f32_i4_sdwa v48, v49 dst_sel:DWORD dst_unused:UNUSED_PRESERVE src0_sel:BYTE_3// 000000004AD0: 7E601CF9 00031631
	v_cvt_pk_fp8_f32 v51, v47, v48 op_sel:[0,0,1]              // 000000004AD8: D2A24033 0002612F
	v_accvgpr_write_b32 a82, v50                               // 000000004AE0: D3D94052 18000132
	v_accvgpr_write_b32 a83, v51                               // 000000004AE8: D3D94053 18000133
	s_nop 3                                                    // 000000004AF0: BF800003
	v_mfma_f32_16x16x32_fp8_fp8 v[72:75], a[82:83], v[162:163], v[72:75]// 000000004AF4: D3F30048 0D234552
	buffer_load_dwordx4 a[40:43], v33, s[24:27], 0 offen       // 000000004AFC: E05C1000 80862821
	v_accvgpr_read_b32 v46, a106                               // 000000004B04: D3D8402E 1800016A
	v_cvt_off_f32_i4_e32 v47, v46                              // 000000004B0C: 7E5E1D2E
	v_cvt_off_f32_i4_sdwa v48, v46 dst_sel:DWORD dst_unused:UNUSED_PRESERVE src0_sel:BYTE_2// 000000004B10: 7E601CF9 0002162E
	v_cvt_pk_fp8_f32 v50, v47, v48                             // 000000004B18: D2A20032 0002612F
	v_cvt_off_f32_i4_sdwa v47, v46 dst_sel:DWORD dst_unused:UNUSED_PRESERVE src0_sel:BYTE_1// 000000004B20: 7E5E1CF9 0001162E
	v_cvt_off_f32_i4_sdwa v48, v46 dst_sel:DWORD dst_unused:UNUSED_PRESERVE src0_sel:BYTE_3// 000000004B28: 7E601CF9 0003162E
	v_cvt_pk_fp8_f32 v51, v47, v48                             // 000000004B30: D2A20033 0002612F
	v_lshrrev_b32_e32 v49, 4, v46                              // 000000004B38: 20625C84
	v_cvt_off_f32_i4_e32 v47, v49                              // 000000004B3C: 7E5E1D31
	v_cvt_off_f32_i4_sdwa v48, v49 dst_sel:DWORD dst_unused:UNUSED_PRESERVE src0_sel:BYTE_2// 000000004B40: 7E601CF9 00021631
	v_cvt_pk_fp8_f32 v50, v47, v48 op_sel:[0,0,1]              // 000000004B48: D2A24032 0002612F
	v_cvt_off_f32_i4_sdwa v47, v49 dst_sel:DWORD dst_unused:UNUSED_PRESERVE src0_sel:BYTE_1// 000000004B50: 7E5E1CF9 00011631
	v_cvt_off_f32_i4_sdwa v48, v49 dst_sel:DWORD dst_unused:UNUSED_PRESERVE src0_sel:BYTE_3// 000000004B58: 7E601CF9 00031631
	v_cvt_pk_fp8_f32 v51, v47, v48 op_sel:[0,0,1]              // 000000004B60: D2A24033 0002612F
	v_accvgpr_write_b32 a84, v50                               // 000000004B68: D3D94054 18000132
	v_accvgpr_write_b32 a85, v51                               // 000000004B70: D3D94055 18000133
	s_nop 3                                                    // 000000004B78: BF800003
	v_mfma_f32_16x16x32_fp8_fp8 v[72:75], a[84:85], v[164:165], v[72:75]// 000000004B7C: D3F30048 0D234954
	v_accvgpr_read_b32 v46, a107                               // 000000004B84: D3D8402E 1800016B
	v_cvt_off_f32_i4_e32 v47, v46                              // 000000004B8C: 7E5E1D2E
	v_cvt_off_f32_i4_sdwa v48, v46 dst_sel:DWORD dst_unused:UNUSED_PRESERVE src0_sel:BYTE_2// 000000004B90: 7E601CF9 0002162E
	v_cvt_pk_fp8_f32 v50, v47, v48                             // 000000004B98: D2A20032 0002612F
	v_cvt_off_f32_i4_sdwa v47, v46 dst_sel:DWORD dst_unused:UNUSED_PRESERVE src0_sel:BYTE_1// 000000004BA0: 7E5E1CF9 0001162E
	v_cvt_off_f32_i4_sdwa v48, v46 dst_sel:DWORD dst_unused:UNUSED_PRESERVE src0_sel:BYTE_3// 000000004BA8: 7E601CF9 0003162E
	v_cvt_pk_fp8_f32 v51, v47, v48                             // 000000004BB0: D2A20033 0002612F
	v_lshrrev_b32_e32 v49, 4, v46                              // 000000004BB8: 20625C84
	v_cvt_off_f32_i4_e32 v47, v49                              // 000000004BBC: 7E5E1D31
	v_cvt_off_f32_i4_sdwa v48, v49 dst_sel:DWORD dst_unused:UNUSED_PRESERVE src0_sel:BYTE_2// 000000004BC0: 7E601CF9 00021631
	v_cvt_pk_fp8_f32 v50, v47, v48 op_sel:[0,0,1]              // 000000004BC8: D2A24032 0002612F
	v_cvt_off_f32_i4_sdwa v47, v49 dst_sel:DWORD dst_unused:UNUSED_PRESERVE src0_sel:BYTE_1// 000000004BD0: 7E5E1CF9 00011631
	v_cvt_off_f32_i4_sdwa v48, v49 dst_sel:DWORD dst_unused:UNUSED_PRESERVE src0_sel:BYTE_3// 000000004BD8: 7E601CF9 00031631
	v_cvt_pk_fp8_f32 v51, v47, v48 op_sel:[0,0,1]              // 000000004BE0: D2A24033 0002612F
	v_accvgpr_write_b32 a86, v50                               // 000000004BE8: D3D94056 18000132
	v_accvgpr_write_b32 a87, v51                               // 000000004BF0: D3D94057 18000133
	s_nop 3                                                    // 000000004BF8: BF800003
	v_mfma_f32_16x16x32_fp8_fp8 v[72:75], a[86:87], v[166:167], v[72:75]// 000000004BFC: D3F30048 0D234D56
	v_accvgpr_read_b32 v46, a108                               // 000000004C04: D3D8402E 1800016C
	v_cvt_off_f32_i4_e32 v47, v46                              // 000000004C0C: 7E5E1D2E
	v_cvt_off_f32_i4_sdwa v48, v46 dst_sel:DWORD dst_unused:UNUSED_PRESERVE src0_sel:BYTE_2// 000000004C10: 7E601CF9 0002162E
	v_cvt_pk_fp8_f32 v50, v47, v48                             // 000000004C18: D2A20032 0002612F
	v_cvt_off_f32_i4_sdwa v47, v46 dst_sel:DWORD dst_unused:UNUSED_PRESERVE src0_sel:BYTE_1// 000000004C20: 7E5E1CF9 0001162E
	v_cvt_off_f32_i4_sdwa v48, v46 dst_sel:DWORD dst_unused:UNUSED_PRESERVE src0_sel:BYTE_3// 000000004C28: 7E601CF9 0003162E
	v_cvt_pk_fp8_f32 v51, v47, v48                             // 000000004C30: D2A20033 0002612F
	v_lshrrev_b32_e32 v49, 4, v46                              // 000000004C38: 20625C84
	v_cvt_off_f32_i4_e32 v47, v49                              // 000000004C3C: 7E5E1D31
	v_cvt_off_f32_i4_sdwa v48, v49 dst_sel:DWORD dst_unused:UNUSED_PRESERVE src0_sel:BYTE_2// 000000004C40: 7E601CF9 00021631
	v_cvt_pk_fp8_f32 v50, v47, v48 op_sel:[0,0,1]              // 000000004C48: D2A24032 0002612F
	v_cvt_off_f32_i4_sdwa v47, v49 dst_sel:DWORD dst_unused:UNUSED_PRESERVE src0_sel:BYTE_1// 000000004C50: 7E5E1CF9 00011631
	v_cvt_off_f32_i4_sdwa v48, v49 dst_sel:DWORD dst_unused:UNUSED_PRESERVE src0_sel:BYTE_3// 000000004C58: 7E601CF9 00031631
	v_cvt_pk_fp8_f32 v51, v47, v48 op_sel:[0,0,1]              // 000000004C60: D2A24033 0002612F
	v_accvgpr_write_b32 a88, v50                               // 000000004C68: D3D94058 18000132
	v_accvgpr_write_b32 a89, v51                               // 000000004C70: D3D94059 18000133
	s_nop 3                                                    // 000000004C78: BF800003
	v_mfma_f32_16x16x32_fp8_fp8 v[72:75], a[88:89], v[168:169], v[72:75]// 000000004C7C: D3F30048 0D235158
	v_accvgpr_read_b32 v46, a109                               // 000000004C84: D3D8402E 1800016D
	v_cvt_off_f32_i4_e32 v47, v46                              // 000000004C8C: 7E5E1D2E
	v_cvt_off_f32_i4_sdwa v48, v46 dst_sel:DWORD dst_unused:UNUSED_PRESERVE src0_sel:BYTE_2// 000000004C90: 7E601CF9 0002162E
	v_cvt_pk_fp8_f32 v50, v47, v48                             // 000000004C98: D2A20032 0002612F
	v_cvt_off_f32_i4_sdwa v47, v46 dst_sel:DWORD dst_unused:UNUSED_PRESERVE src0_sel:BYTE_1// 000000004CA0: 7E5E1CF9 0001162E
	v_cvt_off_f32_i4_sdwa v48, v46 dst_sel:DWORD dst_unused:UNUSED_PRESERVE src0_sel:BYTE_3// 000000004CA8: 7E601CF9 0003162E
	v_cvt_pk_fp8_f32 v51, v47, v48                             // 000000004CB0: D2A20033 0002612F
	v_lshrrev_b32_e32 v49, 4, v46                              // 000000004CB8: 20625C84
	v_cvt_off_f32_i4_e32 v47, v49                              // 000000004CBC: 7E5E1D31
	v_cvt_off_f32_i4_sdwa v48, v49 dst_sel:DWORD dst_unused:UNUSED_PRESERVE src0_sel:BYTE_2// 000000004CC0: 7E601CF9 00021631
	v_cvt_pk_fp8_f32 v50, v47, v48 op_sel:[0,0,1]              // 000000004CC8: D2A24032 0002612F
	v_cvt_off_f32_i4_sdwa v47, v49 dst_sel:DWORD dst_unused:UNUSED_PRESERVE src0_sel:BYTE_1// 000000004CD0: 7E5E1CF9 00011631
	v_cvt_off_f32_i4_sdwa v48, v49 dst_sel:DWORD dst_unused:UNUSED_PRESERVE src0_sel:BYTE_3// 000000004CD8: 7E601CF9 00031631
	v_cvt_pk_fp8_f32 v51, v47, v48 op_sel:[0,0,1]              // 000000004CE0: D2A24033 0002612F
	v_accvgpr_write_b32 a90, v50                               // 000000004CE8: D3D9405A 18000132
	v_accvgpr_write_b32 a91, v51                               // 000000004CF0: D3D9405B 18000133
	s_nop 3                                                    // 000000004CF8: BF800003
	v_mfma_f32_16x16x32_fp8_fp8 v[72:75], a[90:91], v[170:171], v[72:75]// 000000004CFC: D3F30048 0D23555A
	v_accvgpr_read_b32 v46, a110                               // 000000004D04: D3D8402E 1800016E
	v_cvt_off_f32_i4_e32 v47, v46                              // 000000004D0C: 7E5E1D2E
	v_cvt_off_f32_i4_sdwa v48, v46 dst_sel:DWORD dst_unused:UNUSED_PRESERVE src0_sel:BYTE_2// 000000004D10: 7E601CF9 0002162E
	v_cvt_pk_fp8_f32 v50, v47, v48                             // 000000004D18: D2A20032 0002612F
	v_cvt_off_f32_i4_sdwa v47, v46 dst_sel:DWORD dst_unused:UNUSED_PRESERVE src0_sel:BYTE_1// 000000004D20: 7E5E1CF9 0001162E
	v_cvt_off_f32_i4_sdwa v48, v46 dst_sel:DWORD dst_unused:UNUSED_PRESERVE src0_sel:BYTE_3// 000000004D28: 7E601CF9 0003162E
	v_cvt_pk_fp8_f32 v51, v47, v48                             // 000000004D30: D2A20033 0002612F
	v_lshrrev_b32_e32 v49, 4, v46                              // 000000004D38: 20625C84
	v_cvt_off_f32_i4_e32 v47, v49                              // 000000004D3C: 7E5E1D31
	v_cvt_off_f32_i4_sdwa v48, v49 dst_sel:DWORD dst_unused:UNUSED_PRESERVE src0_sel:BYTE_2// 000000004D40: 7E601CF9 00021631
	v_cvt_pk_fp8_f32 v50, v47, v48 op_sel:[0,0,1]              // 000000004D48: D2A24032 0002612F
	v_cvt_off_f32_i4_sdwa v47, v49 dst_sel:DWORD dst_unused:UNUSED_PRESERVE src0_sel:BYTE_1// 000000004D50: 7E5E1CF9 00011631
	v_cvt_off_f32_i4_sdwa v48, v49 dst_sel:DWORD dst_unused:UNUSED_PRESERVE src0_sel:BYTE_3// 000000004D58: 7E601CF9 00031631
	v_cvt_pk_fp8_f32 v51, v47, v48 op_sel:[0,0,1]              // 000000004D60: D2A24033 0002612F
	v_accvgpr_write_b32 a92, v50                               // 000000004D68: D3D9405C 18000132
	v_accvgpr_write_b32 a93, v51                               // 000000004D70: D3D9405D 18000133
	s_nop 3                                                    // 000000004D78: BF800003
	v_mfma_f32_16x16x32_fp8_fp8 v[72:75], a[92:93], v[172:173], v[72:75]// 000000004D7C: D3F30048 0D23595C
	v_accvgpr_read_b32 v46, a111                               // 000000004D84: D3D8402E 1800016F
	v_cvt_off_f32_i4_e32 v47, v46                              // 000000004D8C: 7E5E1D2E
	v_cvt_off_f32_i4_sdwa v48, v46 dst_sel:DWORD dst_unused:UNUSED_PRESERVE src0_sel:BYTE_2// 000000004D90: 7E601CF9 0002162E
	v_cvt_pk_fp8_f32 v50, v47, v48                             // 000000004D98: D2A20032 0002612F
	v_cvt_off_f32_i4_sdwa v47, v46 dst_sel:DWORD dst_unused:UNUSED_PRESERVE src0_sel:BYTE_1// 000000004DA0: 7E5E1CF9 0001162E
	v_cvt_off_f32_i4_sdwa v48, v46 dst_sel:DWORD dst_unused:UNUSED_PRESERVE src0_sel:BYTE_3// 000000004DA8: 7E601CF9 0003162E
	v_cvt_pk_fp8_f32 v51, v47, v48                             // 000000004DB0: D2A20033 0002612F
	v_lshrrev_b32_e32 v49, 4, v46                              // 000000004DB8: 20625C84
	v_cvt_off_f32_i4_e32 v47, v49                              // 000000004DBC: 7E5E1D31
	v_cvt_off_f32_i4_sdwa v48, v49 dst_sel:DWORD dst_unused:UNUSED_PRESERVE src0_sel:BYTE_2// 000000004DC0: 7E601CF9 00021631
	v_cvt_pk_fp8_f32 v50, v47, v48 op_sel:[0,0,1]              // 000000004DC8: D2A24032 0002612F
	v_cvt_off_f32_i4_sdwa v47, v49 dst_sel:DWORD dst_unused:UNUSED_PRESERVE src0_sel:BYTE_1// 000000004DD0: 7E5E1CF9 00011631
	v_cvt_off_f32_i4_sdwa v48, v49 dst_sel:DWORD dst_unused:UNUSED_PRESERVE src0_sel:BYTE_3// 000000004DD8: 7E601CF9 00031631
	v_cvt_pk_fp8_f32 v51, v47, v48 op_sel:[0,0,1]              // 000000004DE0: D2A24033 0002612F
	v_accvgpr_write_b32 a94, v50                               // 000000004DE8: D3D9405E 18000132
	v_accvgpr_write_b32 a95, v51                               // 000000004DF0: D3D9405F 18000133
	s_nop 3                                                    // 000000004DF8: BF800003
	v_mfma_f32_16x16x32_fp8_fp8 v[72:75], a[94:95], v[174:175], v[72:75]// 000000004DFC: D3F30048 0D235D5E
	v_mfma_f32_16x16x32_fp8_fp8 v[76:79], a[80:81], v[176:177], v[76:79]// 000000004E04: D3F3004C 0D336150
	v_mfma_f32_16x16x32_fp8_fp8 v[76:79], a[82:83], v[178:179], v[76:79]// 000000004E0C: D3F3004C 0D336552
	buffer_load_dwordx4 a[44:47], v33, s[24:27], 0 offen offset:1024// 000000004E14: E05C1400 80862C21
	v_mfma_f32_16x16x32_fp8_fp8 v[76:79], a[84:85], v[180:181], v[76:79]// 000000004E1C: D3F3004C 0D336954
	v_mfma_f32_16x16x32_fp8_fp8 v[76:79], a[86:87], v[182:183], v[76:79]// 000000004E24: D3F3004C 0D336D56
	v_mfma_f32_16x16x32_fp8_fp8 v[76:79], a[88:89], v[184:185], v[76:79]// 000000004E2C: D3F3004C 0D337158
	v_mfma_f32_16x16x32_fp8_fp8 v[76:79], a[90:91], v[186:187], v[76:79]// 000000004E34: D3F3004C 0D33755A
	v_mfma_f32_16x16x32_fp8_fp8 v[76:79], a[92:93], v[188:189], v[76:79]// 000000004E3C: D3F3004C 0D33795C
	v_mfma_f32_16x16x32_fp8_fp8 v[76:79], a[94:95], v[190:191], v[76:79]// 000000004E44: D3F3004C 0D337D5E
	s_waitcnt vmcnt(6)                                         // 000000004E4C: BF8C0F76
	v_accvgpr_read_b32 v46, a112                               // 000000004E50: D3D8402E 18000170
	v_cvt_off_f32_i4_e32 v47, v46                              // 000000004E58: 7E5E1D2E
	v_cvt_off_f32_i4_sdwa v48, v46 dst_sel:DWORD dst_unused:UNUSED_PRESERVE src0_sel:BYTE_2// 000000004E5C: 7E601CF9 0002162E
	v_cvt_pk_fp8_f32 v50, v47, v48                             // 000000004E64: D2A20032 0002612F
	v_cvt_off_f32_i4_sdwa v47, v46 dst_sel:DWORD dst_unused:UNUSED_PRESERVE src0_sel:BYTE_1// 000000004E6C: 7E5E1CF9 0001162E
	v_cvt_off_f32_i4_sdwa v48, v46 dst_sel:DWORD dst_unused:UNUSED_PRESERVE src0_sel:BYTE_3// 000000004E74: 7E601CF9 0003162E
	v_cvt_pk_fp8_f32 v51, v47, v48                             // 000000004E7C: D2A20033 0002612F
	v_lshrrev_b32_e32 v49, 4, v46                              // 000000004E84: 20625C84
	v_cvt_off_f32_i4_e32 v47, v49                              // 000000004E88: 7E5E1D31
	v_cvt_off_f32_i4_sdwa v48, v49 dst_sel:DWORD dst_unused:UNUSED_PRESERVE src0_sel:BYTE_2// 000000004E8C: 7E601CF9 00021631
	v_cvt_pk_fp8_f32 v50, v47, v48 op_sel:[0,0,1]              // 000000004E94: D2A24032 0002612F
	v_cvt_off_f32_i4_sdwa v47, v49 dst_sel:DWORD dst_unused:UNUSED_PRESERVE src0_sel:BYTE_1// 000000004E9C: 7E5E1CF9 00011631
	v_cvt_off_f32_i4_sdwa v48, v49 dst_sel:DWORD dst_unused:UNUSED_PRESERVE src0_sel:BYTE_3// 000000004EA4: 7E601CF9 00031631
	v_cvt_pk_fp8_f32 v51, v47, v48 op_sel:[0,0,1]              // 000000004EAC: D2A24033 0002612F
	v_accvgpr_write_b32 a96, v50                               // 000000004EB4: D3D94060 18000132
	v_accvgpr_write_b32 a97, v51                               // 000000004EBC: D3D94061 18000133
	s_nop 3                                                    // 000000004EC4: BF800003
	v_mfma_f32_16x16x32_fp8_fp8 v[80:83], a[96:97], v[160:161], v[80:83]// 000000004EC8: D3F30050 0D434160
	v_accvgpr_read_b32 v46, a113                               // 000000004ED0: D3D8402E 18000171
	v_cvt_off_f32_i4_e32 v47, v46                              // 000000004ED8: 7E5E1D2E
	v_cvt_off_f32_i4_sdwa v48, v46 dst_sel:DWORD dst_unused:UNUSED_PRESERVE src0_sel:BYTE_2// 000000004EDC: 7E601CF9 0002162E
	v_cvt_pk_fp8_f32 v50, v47, v48                             // 000000004EE4: D2A20032 0002612F
	v_cvt_off_f32_i4_sdwa v47, v46 dst_sel:DWORD dst_unused:UNUSED_PRESERVE src0_sel:BYTE_1// 000000004EEC: 7E5E1CF9 0001162E
	v_cvt_off_f32_i4_sdwa v48, v46 dst_sel:DWORD dst_unused:UNUSED_PRESERVE src0_sel:BYTE_3// 000000004EF4: 7E601CF9 0003162E
	v_cvt_pk_fp8_f32 v51, v47, v48                             // 000000004EFC: D2A20033 0002612F
	v_lshrrev_b32_e32 v49, 4, v46                              // 000000004F04: 20625C84
	v_cvt_off_f32_i4_e32 v47, v49                              // 000000004F08: 7E5E1D31
	v_cvt_off_f32_i4_sdwa v48, v49 dst_sel:DWORD dst_unused:UNUSED_PRESERVE src0_sel:BYTE_2// 000000004F0C: 7E601CF9 00021631
	v_cvt_pk_fp8_f32 v50, v47, v48 op_sel:[0,0,1]              // 000000004F14: D2A24032 0002612F
	v_cvt_off_f32_i4_sdwa v47, v49 dst_sel:DWORD dst_unused:UNUSED_PRESERVE src0_sel:BYTE_1// 000000004F1C: 7E5E1CF9 00011631
	v_cvt_off_f32_i4_sdwa v48, v49 dst_sel:DWORD dst_unused:UNUSED_PRESERVE src0_sel:BYTE_3// 000000004F24: 7E601CF9 00031631
	v_cvt_pk_fp8_f32 v51, v47, v48 op_sel:[0,0,1]              // 000000004F2C: D2A24033 0002612F
	v_accvgpr_write_b32 a98, v50                               // 000000004F34: D3D94062 18000132
	v_accvgpr_write_b32 a99, v51                               // 000000004F3C: D3D94063 18000133
	s_nop 3                                                    // 000000004F44: BF800003
	v_mfma_f32_16x16x32_fp8_fp8 v[80:83], a[98:99], v[162:163], v[80:83]// 000000004F48: D3F30050 0D434562
	buffer_load_dwordx4 a[48:51], v34, s[24:27], 0 offen       // 000000004F50: E05C1000 80863022
	v_accvgpr_read_b32 v46, a114                               // 000000004F58: D3D8402E 18000172
	v_cvt_off_f32_i4_e32 v47, v46                              // 000000004F60: 7E5E1D2E
	v_cvt_off_f32_i4_sdwa v48, v46 dst_sel:DWORD dst_unused:UNUSED_PRESERVE src0_sel:BYTE_2// 000000004F64: 7E601CF9 0002162E
	v_cvt_pk_fp8_f32 v50, v47, v48                             // 000000004F6C: D2A20032 0002612F
	v_cvt_off_f32_i4_sdwa v47, v46 dst_sel:DWORD dst_unused:UNUSED_PRESERVE src0_sel:BYTE_1// 000000004F74: 7E5E1CF9 0001162E
	v_cvt_off_f32_i4_sdwa v48, v46 dst_sel:DWORD dst_unused:UNUSED_PRESERVE src0_sel:BYTE_3// 000000004F7C: 7E601CF9 0003162E
	v_cvt_pk_fp8_f32 v51, v47, v48                             // 000000004F84: D2A20033 0002612F
	v_lshrrev_b32_e32 v49, 4, v46                              // 000000004F8C: 20625C84
	v_cvt_off_f32_i4_e32 v47, v49                              // 000000004F90: 7E5E1D31
	v_cvt_off_f32_i4_sdwa v48, v49 dst_sel:DWORD dst_unused:UNUSED_PRESERVE src0_sel:BYTE_2// 000000004F94: 7E601CF9 00021631
	v_cvt_pk_fp8_f32 v50, v47, v48 op_sel:[0,0,1]              // 000000004F9C: D2A24032 0002612F
	v_cvt_off_f32_i4_sdwa v47, v49 dst_sel:DWORD dst_unused:UNUSED_PRESERVE src0_sel:BYTE_1// 000000004FA4: 7E5E1CF9 00011631
	v_cvt_off_f32_i4_sdwa v48, v49 dst_sel:DWORD dst_unused:UNUSED_PRESERVE src0_sel:BYTE_3// 000000004FAC: 7E601CF9 00031631
	v_cvt_pk_fp8_f32 v51, v47, v48 op_sel:[0,0,1]              // 000000004FB4: D2A24033 0002612F
	v_accvgpr_write_b32 a100, v50                              // 000000004FBC: D3D94064 18000132
	v_accvgpr_write_b32 a101, v51                              // 000000004FC4: D3D94065 18000133
	s_nop 3                                                    // 000000004FCC: BF800003
	v_mfma_f32_16x16x32_fp8_fp8 v[80:83], a[100:101], v[164:165], v[80:83]// 000000004FD0: D3F30050 0D434964
	v_accvgpr_read_b32 v46, a115                               // 000000004FD8: D3D8402E 18000173
	v_cvt_off_f32_i4_e32 v47, v46                              // 000000004FE0: 7E5E1D2E
	v_cvt_off_f32_i4_sdwa v48, v46 dst_sel:DWORD dst_unused:UNUSED_PRESERVE src0_sel:BYTE_2// 000000004FE4: 7E601CF9 0002162E
	v_cvt_pk_fp8_f32 v50, v47, v48                             // 000000004FEC: D2A20032 0002612F
	v_cvt_off_f32_i4_sdwa v47, v46 dst_sel:DWORD dst_unused:UNUSED_PRESERVE src0_sel:BYTE_1// 000000004FF4: 7E5E1CF9 0001162E
	v_cvt_off_f32_i4_sdwa v48, v46 dst_sel:DWORD dst_unused:UNUSED_PRESERVE src0_sel:BYTE_3// 000000004FFC: 7E601CF9 0003162E
	v_cvt_pk_fp8_f32 v51, v47, v48                             // 000000005004: D2A20033 0002612F
	v_lshrrev_b32_e32 v49, 4, v46                              // 00000000500C: 20625C84
	v_cvt_off_f32_i4_e32 v47, v49                              // 000000005010: 7E5E1D31
	v_cvt_off_f32_i4_sdwa v48, v49 dst_sel:DWORD dst_unused:UNUSED_PRESERVE src0_sel:BYTE_2// 000000005014: 7E601CF9 00021631
	v_cvt_pk_fp8_f32 v50, v47, v48 op_sel:[0,0,1]              // 00000000501C: D2A24032 0002612F
	v_cvt_off_f32_i4_sdwa v47, v49 dst_sel:DWORD dst_unused:UNUSED_PRESERVE src0_sel:BYTE_1// 000000005024: 7E5E1CF9 00011631
	v_cvt_off_f32_i4_sdwa v48, v49 dst_sel:DWORD dst_unused:UNUSED_PRESERVE src0_sel:BYTE_3// 00000000502C: 7E601CF9 00031631
	v_cvt_pk_fp8_f32 v51, v47, v48 op_sel:[0,0,1]              // 000000005034: D2A24033 0002612F
	v_accvgpr_write_b32 a102, v50                              // 00000000503C: D3D94066 18000132
	v_accvgpr_write_b32 a103, v51                              // 000000005044: D3D94067 18000133
	s_nop 3                                                    // 00000000504C: BF800003
	v_mfma_f32_16x16x32_fp8_fp8 v[80:83], a[102:103], v[166:167], v[80:83]// 000000005050: D3F30050 0D434D66
	ds_read_b128 v[192:195], v2 offset:8320                    // 000000005058: D9FE2080 C0000002
	v_accvgpr_read_b32 v46, a116                               // 000000005060: D3D8402E 18000174
	v_cvt_off_f32_i4_e32 v47, v46                              // 000000005068: 7E5E1D2E
	v_cvt_off_f32_i4_sdwa v48, v46 dst_sel:DWORD dst_unused:UNUSED_PRESERVE src0_sel:BYTE_2// 00000000506C: 7E601CF9 0002162E
	v_cvt_pk_fp8_f32 v50, v47, v48                             // 000000005074: D2A20032 0002612F
	v_cvt_off_f32_i4_sdwa v47, v46 dst_sel:DWORD dst_unused:UNUSED_PRESERVE src0_sel:BYTE_1// 00000000507C: 7E5E1CF9 0001162E
	v_cvt_off_f32_i4_sdwa v48, v46 dst_sel:DWORD dst_unused:UNUSED_PRESERVE src0_sel:BYTE_3// 000000005084: 7E601CF9 0003162E
	v_cvt_pk_fp8_f32 v51, v47, v48                             // 00000000508C: D2A20033 0002612F
	v_lshrrev_b32_e32 v49, 4, v46                              // 000000005094: 20625C84
	v_cvt_off_f32_i4_e32 v47, v49                              // 000000005098: 7E5E1D31
	v_cvt_off_f32_i4_sdwa v48, v49 dst_sel:DWORD dst_unused:UNUSED_PRESERVE src0_sel:BYTE_2// 00000000509C: 7E601CF9 00021631
	v_cvt_pk_fp8_f32 v50, v47, v48 op_sel:[0,0,1]              // 0000000050A4: D2A24032 0002612F
	v_cvt_off_f32_i4_sdwa v47, v49 dst_sel:DWORD dst_unused:UNUSED_PRESERVE src0_sel:BYTE_1// 0000000050AC: 7E5E1CF9 00011631
	v_cvt_off_f32_i4_sdwa v48, v49 dst_sel:DWORD dst_unused:UNUSED_PRESERVE src0_sel:BYTE_3// 0000000050B4: 7E601CF9 00031631
	v_cvt_pk_fp8_f32 v51, v47, v48 op_sel:[0,0,1]              // 0000000050BC: D2A24033 0002612F
	v_accvgpr_write_b32 a104, v50                              // 0000000050C4: D3D94068 18000132
	v_accvgpr_write_b32 a105, v51                              // 0000000050CC: D3D94069 18000133
	s_nop 3                                                    // 0000000050D4: BF800003
	v_mfma_f32_16x16x32_fp8_fp8 v[80:83], a[104:105], v[168:169], v[80:83]// 0000000050D8: D3F30050 0D435168
	v_accvgpr_read_b32 v46, a117                               // 0000000050E0: D3D8402E 18000175
	v_cvt_off_f32_i4_e32 v47, v46                              // 0000000050E8: 7E5E1D2E
	v_cvt_off_f32_i4_sdwa v48, v46 dst_sel:DWORD dst_unused:UNUSED_PRESERVE src0_sel:BYTE_2// 0000000050EC: 7E601CF9 0002162E
	v_cvt_pk_fp8_f32 v50, v47, v48                             // 0000000050F4: D2A20032 0002612F
	v_cvt_off_f32_i4_sdwa v47, v46 dst_sel:DWORD dst_unused:UNUSED_PRESERVE src0_sel:BYTE_1// 0000000050FC: 7E5E1CF9 0001162E
	v_cvt_off_f32_i4_sdwa v48, v46 dst_sel:DWORD dst_unused:UNUSED_PRESERVE src0_sel:BYTE_3// 000000005104: 7E601CF9 0003162E
	v_cvt_pk_fp8_f32 v51, v47, v48                             // 00000000510C: D2A20033 0002612F
	v_lshrrev_b32_e32 v49, 4, v46                              // 000000005114: 20625C84
	v_cvt_off_f32_i4_e32 v47, v49                              // 000000005118: 7E5E1D31
	v_cvt_off_f32_i4_sdwa v48, v49 dst_sel:DWORD dst_unused:UNUSED_PRESERVE src0_sel:BYTE_2// 00000000511C: 7E601CF9 00021631
	v_cvt_pk_fp8_f32 v50, v47, v48 op_sel:[0,0,1]              // 000000005124: D2A24032 0002612F
	v_cvt_off_f32_i4_sdwa v47, v49 dst_sel:DWORD dst_unused:UNUSED_PRESERVE src0_sel:BYTE_1// 00000000512C: 7E5E1CF9 00011631
	v_cvt_off_f32_i4_sdwa v48, v49 dst_sel:DWORD dst_unused:UNUSED_PRESERVE src0_sel:BYTE_3// 000000005134: 7E601CF9 00031631
	v_cvt_pk_fp8_f32 v51, v47, v48 op_sel:[0,0,1]              // 00000000513C: D2A24033 0002612F
	v_accvgpr_write_b32 a106, v50                              // 000000005144: D3D9406A 18000132
	v_accvgpr_write_b32 a107, v51                              // 00000000514C: D3D9406B 18000133
	s_nop 3                                                    // 000000005154: BF800003
	v_mfma_f32_16x16x32_fp8_fp8 v[80:83], a[106:107], v[170:171], v[80:83]// 000000005158: D3F30050 0D43556A
	v_accvgpr_read_b32 v46, a118                               // 000000005160: D3D8402E 18000176
	v_cvt_off_f32_i4_e32 v47, v46                              // 000000005168: 7E5E1D2E
	v_cvt_off_f32_i4_sdwa v48, v46 dst_sel:DWORD dst_unused:UNUSED_PRESERVE src0_sel:BYTE_2// 00000000516C: 7E601CF9 0002162E
	v_cvt_pk_fp8_f32 v50, v47, v48                             // 000000005174: D2A20032 0002612F
	v_cvt_off_f32_i4_sdwa v47, v46 dst_sel:DWORD dst_unused:UNUSED_PRESERVE src0_sel:BYTE_1// 00000000517C: 7E5E1CF9 0001162E
	v_cvt_off_f32_i4_sdwa v48, v46 dst_sel:DWORD dst_unused:UNUSED_PRESERVE src0_sel:BYTE_3// 000000005184: 7E601CF9 0003162E
	v_cvt_pk_fp8_f32 v51, v47, v48                             // 00000000518C: D2A20033 0002612F
	v_lshrrev_b32_e32 v49, 4, v46                              // 000000005194: 20625C84
	v_cvt_off_f32_i4_e32 v47, v49                              // 000000005198: 7E5E1D31
	v_cvt_off_f32_i4_sdwa v48, v49 dst_sel:DWORD dst_unused:UNUSED_PRESERVE src0_sel:BYTE_2// 00000000519C: 7E601CF9 00021631
	v_cvt_pk_fp8_f32 v50, v47, v48 op_sel:[0,0,1]              // 0000000051A4: D2A24032 0002612F
	v_cvt_off_f32_i4_sdwa v47, v49 dst_sel:DWORD dst_unused:UNUSED_PRESERVE src0_sel:BYTE_1// 0000000051AC: 7E5E1CF9 00011631
	v_cvt_off_f32_i4_sdwa v48, v49 dst_sel:DWORD dst_unused:UNUSED_PRESERVE src0_sel:BYTE_3// 0000000051B4: 7E601CF9 00031631
	v_cvt_pk_fp8_f32 v51, v47, v48 op_sel:[0,0,1]              // 0000000051BC: D2A24033 0002612F
	v_accvgpr_write_b32 a108, v50                              // 0000000051C4: D3D9406C 18000132
	v_accvgpr_write_b32 a109, v51                              // 0000000051CC: D3D9406D 18000133
	s_nop 3                                                    // 0000000051D4: BF800003
	v_mfma_f32_16x16x32_fp8_fp8 v[80:83], a[108:109], v[172:173], v[80:83]// 0000000051D8: D3F30050 0D43596C
	v_accvgpr_read_b32 v46, a119                               // 0000000051E0: D3D8402E 18000177
	v_cvt_off_f32_i4_e32 v47, v46                              // 0000000051E8: 7E5E1D2E
	v_cvt_off_f32_i4_sdwa v48, v46 dst_sel:DWORD dst_unused:UNUSED_PRESERVE src0_sel:BYTE_2// 0000000051EC: 7E601CF9 0002162E
	v_cvt_pk_fp8_f32 v50, v47, v48                             // 0000000051F4: D2A20032 0002612F
	v_cvt_off_f32_i4_sdwa v47, v46 dst_sel:DWORD dst_unused:UNUSED_PRESERVE src0_sel:BYTE_1// 0000000051FC: 7E5E1CF9 0001162E
	v_cvt_off_f32_i4_sdwa v48, v46 dst_sel:DWORD dst_unused:UNUSED_PRESERVE src0_sel:BYTE_3// 000000005204: 7E601CF9 0003162E
	v_cvt_pk_fp8_f32 v51, v47, v48                             // 00000000520C: D2A20033 0002612F
	v_lshrrev_b32_e32 v49, 4, v46                              // 000000005214: 20625C84
	v_cvt_off_f32_i4_e32 v47, v49                              // 000000005218: 7E5E1D31
	v_cvt_off_f32_i4_sdwa v48, v49 dst_sel:DWORD dst_unused:UNUSED_PRESERVE src0_sel:BYTE_2// 00000000521C: 7E601CF9 00021631
	v_cvt_pk_fp8_f32 v50, v47, v48 op_sel:[0,0,1]              // 000000005224: D2A24032 0002612F
	v_cvt_off_f32_i4_sdwa v47, v49 dst_sel:DWORD dst_unused:UNUSED_PRESERVE src0_sel:BYTE_1// 00000000522C: 7E5E1CF9 00011631
	v_cvt_off_f32_i4_sdwa v48, v49 dst_sel:DWORD dst_unused:UNUSED_PRESERVE src0_sel:BYTE_3// 000000005234: 7E601CF9 00031631
	v_cvt_pk_fp8_f32 v51, v47, v48 op_sel:[0,0,1]              // 00000000523C: D2A24033 0002612F
	v_accvgpr_write_b32 a110, v50                              // 000000005244: D3D9406E 18000132
	v_accvgpr_write_b32 a111, v51                              // 00000000524C: D3D9406F 18000133
	s_nop 3                                                    // 000000005254: BF800003
	v_mfma_f32_16x16x32_fp8_fp8 v[80:83], a[110:111], v[174:175], v[80:83]// 000000005258: D3F30050 0D435D6E
	ds_read_b128 v[196:199], v2 offset:8336                    // 000000005260: D9FE2090 C4000002
	v_mfma_f32_16x16x32_fp8_fp8 v[84:87], a[96:97], v[176:177], v[84:87]// 000000005268: D3F30054 0D536160
	v_mfma_f32_16x16x32_fp8_fp8 v[84:87], a[98:99], v[178:179], v[84:87]// 000000005270: D3F30054 0D536562
	buffer_load_dwordx4 a[52:55], v34, s[24:27], 0 offen offset:1024// 000000005278: E05C1400 80863422
	v_mfma_f32_16x16x32_fp8_fp8 v[84:87], a[100:101], v[180:181], v[84:87]// 000000005280: D3F30054 0D536964
	v_mfma_f32_16x16x32_fp8_fp8 v[84:87], a[102:103], v[182:183], v[84:87]// 000000005288: D3F30054 0D536D66
	ds_read_b128 v[200:203], v2 offset:8448                    // 000000005290: D9FE2100 C8000002
	v_mfma_f32_16x16x32_fp8_fp8 v[84:87], a[104:105], v[184:185], v[84:87]// 000000005298: D3F30054 0D537168
	v_mfma_f32_16x16x32_fp8_fp8 v[84:87], a[106:107], v[186:187], v[84:87]// 0000000052A0: D3F30054 0D53756A
	v_mfma_f32_16x16x32_fp8_fp8 v[84:87], a[108:109], v[188:189], v[84:87]// 0000000052A8: D3F30054 0D53796C
	v_mfma_f32_16x16x32_fp8_fp8 v[84:87], a[110:111], v[190:191], v[84:87]// 0000000052B0: D3F30054 0D537D6E
	ds_read_b128 v[204:207], v2 offset:8464                    // 0000000052B8: D9FE2110 CC000002
	s_waitcnt vmcnt(6)                                         // 0000000052C0: BF8C0F76
	v_accvgpr_read_b32 v46, a120                               // 0000000052C4: D3D8402E 18000178
	v_cvt_off_f32_i4_e32 v47, v46                              // 0000000052CC: 7E5E1D2E
	v_cvt_off_f32_i4_sdwa v48, v46 dst_sel:DWORD dst_unused:UNUSED_PRESERVE src0_sel:BYTE_2// 0000000052D0: 7E601CF9 0002162E
	v_cvt_pk_fp8_f32 v50, v47, v48                             // 0000000052D8: D2A20032 0002612F
	v_cvt_off_f32_i4_sdwa v47, v46 dst_sel:DWORD dst_unused:UNUSED_PRESERVE src0_sel:BYTE_1// 0000000052E0: 7E5E1CF9 0001162E
	v_cvt_off_f32_i4_sdwa v48, v46 dst_sel:DWORD dst_unused:UNUSED_PRESERVE src0_sel:BYTE_3// 0000000052E8: 7E601CF9 0003162E
	v_cvt_pk_fp8_f32 v51, v47, v48                             // 0000000052F0: D2A20033 0002612F
	v_lshrrev_b32_e32 v49, 4, v46                              // 0000000052F8: 20625C84
	v_cvt_off_f32_i4_e32 v47, v49                              // 0000000052FC: 7E5E1D31
	v_cvt_off_f32_i4_sdwa v48, v49 dst_sel:DWORD dst_unused:UNUSED_PRESERVE src0_sel:BYTE_2// 000000005300: 7E601CF9 00021631
	v_cvt_pk_fp8_f32 v50, v47, v48 op_sel:[0,0,1]              // 000000005308: D2A24032 0002612F
	v_cvt_off_f32_i4_sdwa v47, v49 dst_sel:DWORD dst_unused:UNUSED_PRESERVE src0_sel:BYTE_1// 000000005310: 7E5E1CF9 00011631
	v_cvt_off_f32_i4_sdwa v48, v49 dst_sel:DWORD dst_unused:UNUSED_PRESERVE src0_sel:BYTE_3// 000000005318: 7E601CF9 00031631
	v_cvt_pk_fp8_f32 v51, v47, v48 op_sel:[0,0,1]              // 000000005320: D2A24033 0002612F
	v_accvgpr_write_b32 a112, v50                              // 000000005328: D3D94070 18000132
	v_accvgpr_write_b32 a113, v51                              // 000000005330: D3D94071 18000133
	s_nop 3                                                    // 000000005338: BF800003
	v_mfma_f32_16x16x32_fp8_fp8 v[88:91], a[112:113], v[160:161], v[88:91]// 00000000533C: D3F30058 0D634170
	v_accvgpr_read_b32 v46, a121                               // 000000005344: D3D8402E 18000179
	v_cvt_off_f32_i4_e32 v47, v46                              // 00000000534C: 7E5E1D2E
	v_cvt_off_f32_i4_sdwa v48, v46 dst_sel:DWORD dst_unused:UNUSED_PRESERVE src0_sel:BYTE_2// 000000005350: 7E601CF9 0002162E
	v_cvt_pk_fp8_f32 v50, v47, v48                             // 000000005358: D2A20032 0002612F
	v_cvt_off_f32_i4_sdwa v47, v46 dst_sel:DWORD dst_unused:UNUSED_PRESERVE src0_sel:BYTE_1// 000000005360: 7E5E1CF9 0001162E
	v_cvt_off_f32_i4_sdwa v48, v46 dst_sel:DWORD dst_unused:UNUSED_PRESERVE src0_sel:BYTE_3// 000000005368: 7E601CF9 0003162E
	v_cvt_pk_fp8_f32 v51, v47, v48                             // 000000005370: D2A20033 0002612F
	v_lshrrev_b32_e32 v49, 4, v46                              // 000000005378: 20625C84
	v_cvt_off_f32_i4_e32 v47, v49                              // 00000000537C: 7E5E1D31
	v_cvt_off_f32_i4_sdwa v48, v49 dst_sel:DWORD dst_unused:UNUSED_PRESERVE src0_sel:BYTE_2// 000000005380: 7E601CF9 00021631
	v_cvt_pk_fp8_f32 v50, v47, v48 op_sel:[0,0,1]              // 000000005388: D2A24032 0002612F
	v_cvt_off_f32_i4_sdwa v47, v49 dst_sel:DWORD dst_unused:UNUSED_PRESERVE src0_sel:BYTE_1// 000000005390: 7E5E1CF9 00011631
	v_cvt_off_f32_i4_sdwa v48, v49 dst_sel:DWORD dst_unused:UNUSED_PRESERVE src0_sel:BYTE_3// 000000005398: 7E601CF9 00031631
	v_cvt_pk_fp8_f32 v51, v47, v48 op_sel:[0,0,1]              // 0000000053A0: D2A24033 0002612F
	v_accvgpr_write_b32 a114, v50                              // 0000000053A8: D3D94072 18000132
	v_accvgpr_write_b32 a115, v51                              // 0000000053B0: D3D94073 18000133
	s_nop 3                                                    // 0000000053B8: BF800003
	v_mfma_f32_16x16x32_fp8_fp8 v[88:91], a[114:115], v[162:163], v[88:91]// 0000000053BC: D3F30058 0D634572
	buffer_load_dwordx4 a[56:59], v35, s[24:27], 0 offen       // 0000000053C4: E05C1000 80863823
	v_accvgpr_read_b32 v46, a122                               // 0000000053CC: D3D8402E 1800017A
	v_cvt_off_f32_i4_e32 v47, v46                              // 0000000053D4: 7E5E1D2E
	v_cvt_off_f32_i4_sdwa v48, v46 dst_sel:DWORD dst_unused:UNUSED_PRESERVE src0_sel:BYTE_2// 0000000053D8: 7E601CF9 0002162E
	v_cvt_pk_fp8_f32 v50, v47, v48                             // 0000000053E0: D2A20032 0002612F
	v_cvt_off_f32_i4_sdwa v47, v46 dst_sel:DWORD dst_unused:UNUSED_PRESERVE src0_sel:BYTE_1// 0000000053E8: 7E5E1CF9 0001162E
	v_cvt_off_f32_i4_sdwa v48, v46 dst_sel:DWORD dst_unused:UNUSED_PRESERVE src0_sel:BYTE_3// 0000000053F0: 7E601CF9 0003162E
	v_cvt_pk_fp8_f32 v51, v47, v48                             // 0000000053F8: D2A20033 0002612F
	v_lshrrev_b32_e32 v49, 4, v46                              // 000000005400: 20625C84
	v_cvt_off_f32_i4_e32 v47, v49                              // 000000005404: 7E5E1D31
	v_cvt_off_f32_i4_sdwa v48, v49 dst_sel:DWORD dst_unused:UNUSED_PRESERVE src0_sel:BYTE_2// 000000005408: 7E601CF9 00021631
	v_cvt_pk_fp8_f32 v50, v47, v48 op_sel:[0,0,1]              // 000000005410: D2A24032 0002612F
	v_cvt_off_f32_i4_sdwa v47, v49 dst_sel:DWORD dst_unused:UNUSED_PRESERVE src0_sel:BYTE_1// 000000005418: 7E5E1CF9 00011631
	v_cvt_off_f32_i4_sdwa v48, v49 dst_sel:DWORD dst_unused:UNUSED_PRESERVE src0_sel:BYTE_3// 000000005420: 7E601CF9 00031631
	v_cvt_pk_fp8_f32 v51, v47, v48 op_sel:[0,0,1]              // 000000005428: D2A24033 0002612F
	v_accvgpr_write_b32 a116, v50                              // 000000005430: D3D94074 18000132
	v_accvgpr_write_b32 a117, v51                              // 000000005438: D3D94075 18000133
	s_nop 3                                                    // 000000005440: BF800003
	v_mfma_f32_16x16x32_fp8_fp8 v[88:91], a[116:117], v[164:165], v[88:91]// 000000005444: D3F30058 0D634974
	v_accvgpr_read_b32 v46, a123                               // 00000000544C: D3D8402E 1800017B
	v_cvt_off_f32_i4_e32 v47, v46                              // 000000005454: 7E5E1D2E
	v_cvt_off_f32_i4_sdwa v48, v46 dst_sel:DWORD dst_unused:UNUSED_PRESERVE src0_sel:BYTE_2// 000000005458: 7E601CF9 0002162E
	v_cvt_pk_fp8_f32 v50, v47, v48                             // 000000005460: D2A20032 0002612F
	v_cvt_off_f32_i4_sdwa v47, v46 dst_sel:DWORD dst_unused:UNUSED_PRESERVE src0_sel:BYTE_1// 000000005468: 7E5E1CF9 0001162E
	v_cvt_off_f32_i4_sdwa v48, v46 dst_sel:DWORD dst_unused:UNUSED_PRESERVE src0_sel:BYTE_3// 000000005470: 7E601CF9 0003162E
	v_cvt_pk_fp8_f32 v51, v47, v48                             // 000000005478: D2A20033 0002612F
	v_lshrrev_b32_e32 v49, 4, v46                              // 000000005480: 20625C84
	v_cvt_off_f32_i4_e32 v47, v49                              // 000000005484: 7E5E1D31
	v_cvt_off_f32_i4_sdwa v48, v49 dst_sel:DWORD dst_unused:UNUSED_PRESERVE src0_sel:BYTE_2// 000000005488: 7E601CF9 00021631
	v_cvt_pk_fp8_f32 v50, v47, v48 op_sel:[0,0,1]              // 000000005490: D2A24032 0002612F
	v_cvt_off_f32_i4_sdwa v47, v49 dst_sel:DWORD dst_unused:UNUSED_PRESERVE src0_sel:BYTE_1// 000000005498: 7E5E1CF9 00011631
	v_cvt_off_f32_i4_sdwa v48, v49 dst_sel:DWORD dst_unused:UNUSED_PRESERVE src0_sel:BYTE_3// 0000000054A0: 7E601CF9 00031631
	v_cvt_pk_fp8_f32 v51, v47, v48 op_sel:[0,0,1]              // 0000000054A8: D2A24033 0002612F
	v_accvgpr_write_b32 a118, v50                              // 0000000054B0: D3D94076 18000132
	v_accvgpr_write_b32 a119, v51                              // 0000000054B8: D3D94077 18000133
	s_nop 3                                                    // 0000000054C0: BF800003
	v_mfma_f32_16x16x32_fp8_fp8 v[88:91], a[118:119], v[166:167], v[88:91]// 0000000054C4: D3F30058 0D634D76
	ds_read_b128 v[208:211], v2 offset:9344                    // 0000000054CC: D9FE2480 D0000002
	v_accvgpr_read_b32 v46, a124                               // 0000000054D4: D3D8402E 1800017C
	v_cvt_off_f32_i4_e32 v47, v46                              // 0000000054DC: 7E5E1D2E
	v_cvt_off_f32_i4_sdwa v48, v46 dst_sel:DWORD dst_unused:UNUSED_PRESERVE src0_sel:BYTE_2// 0000000054E0: 7E601CF9 0002162E
	v_cvt_pk_fp8_f32 v50, v47, v48                             // 0000000054E8: D2A20032 0002612F
	v_cvt_off_f32_i4_sdwa v47, v46 dst_sel:DWORD dst_unused:UNUSED_PRESERVE src0_sel:BYTE_1// 0000000054F0: 7E5E1CF9 0001162E
	v_cvt_off_f32_i4_sdwa v48, v46 dst_sel:DWORD dst_unused:UNUSED_PRESERVE src0_sel:BYTE_3// 0000000054F8: 7E601CF9 0003162E
	v_cvt_pk_fp8_f32 v51, v47, v48                             // 000000005500: D2A20033 0002612F
	v_lshrrev_b32_e32 v49, 4, v46                              // 000000005508: 20625C84
	v_cvt_off_f32_i4_e32 v47, v49                              // 00000000550C: 7E5E1D31
	v_cvt_off_f32_i4_sdwa v48, v49 dst_sel:DWORD dst_unused:UNUSED_PRESERVE src0_sel:BYTE_2// 000000005510: 7E601CF9 00021631
	v_cvt_pk_fp8_f32 v50, v47, v48 op_sel:[0,0,1]              // 000000005518: D2A24032 0002612F
	v_cvt_off_f32_i4_sdwa v47, v49 dst_sel:DWORD dst_unused:UNUSED_PRESERVE src0_sel:BYTE_1// 000000005520: 7E5E1CF9 00011631
	v_cvt_off_f32_i4_sdwa v48, v49 dst_sel:DWORD dst_unused:UNUSED_PRESERVE src0_sel:BYTE_3// 000000005528: 7E601CF9 00031631
	v_cvt_pk_fp8_f32 v51, v47, v48 op_sel:[0,0,1]              // 000000005530: D2A24033 0002612F
	v_accvgpr_write_b32 a120, v50                              // 000000005538: D3D94078 18000132
	v_accvgpr_write_b32 a121, v51                              // 000000005540: D3D94079 18000133
	s_nop 3                                                    // 000000005548: BF800003
	v_mfma_f32_16x16x32_fp8_fp8 v[88:91], a[120:121], v[168:169], v[88:91]// 00000000554C: D3F30058 0D635178
	v_accvgpr_read_b32 v46, a125                               // 000000005554: D3D8402E 1800017D
	v_cvt_off_f32_i4_e32 v47, v46                              // 00000000555C: 7E5E1D2E
	v_cvt_off_f32_i4_sdwa v48, v46 dst_sel:DWORD dst_unused:UNUSED_PRESERVE src0_sel:BYTE_2// 000000005560: 7E601CF9 0002162E
	v_cvt_pk_fp8_f32 v50, v47, v48                             // 000000005568: D2A20032 0002612F
	v_cvt_off_f32_i4_sdwa v47, v46 dst_sel:DWORD dst_unused:UNUSED_PRESERVE src0_sel:BYTE_1// 000000005570: 7E5E1CF9 0001162E
	v_cvt_off_f32_i4_sdwa v48, v46 dst_sel:DWORD dst_unused:UNUSED_PRESERVE src0_sel:BYTE_3// 000000005578: 7E601CF9 0003162E
	v_cvt_pk_fp8_f32 v51, v47, v48                             // 000000005580: D2A20033 0002612F
	v_lshrrev_b32_e32 v49, 4, v46                              // 000000005588: 20625C84
	v_cvt_off_f32_i4_e32 v47, v49                              // 00000000558C: 7E5E1D31
	v_cvt_off_f32_i4_sdwa v48, v49 dst_sel:DWORD dst_unused:UNUSED_PRESERVE src0_sel:BYTE_2// 000000005590: 7E601CF9 00021631
	v_cvt_pk_fp8_f32 v50, v47, v48 op_sel:[0,0,1]              // 000000005598: D2A24032 0002612F
	v_cvt_off_f32_i4_sdwa v47, v49 dst_sel:DWORD dst_unused:UNUSED_PRESERVE src0_sel:BYTE_1// 0000000055A0: 7E5E1CF9 00011631
	v_cvt_off_f32_i4_sdwa v48, v49 dst_sel:DWORD dst_unused:UNUSED_PRESERVE src0_sel:BYTE_3// 0000000055A8: 7E601CF9 00031631
	v_cvt_pk_fp8_f32 v51, v47, v48 op_sel:[0,0,1]              // 0000000055B0: D2A24033 0002612F
	v_accvgpr_write_b32 a122, v50                              // 0000000055B8: D3D9407A 18000132
	v_accvgpr_write_b32 a123, v51                              // 0000000055C0: D3D9407B 18000133
	s_nop 3                                                    // 0000000055C8: BF800003
	v_mfma_f32_16x16x32_fp8_fp8 v[88:91], a[122:123], v[170:171], v[88:91]// 0000000055CC: D3F30058 0D63557A
	v_accvgpr_read_b32 v46, a126                               // 0000000055D4: D3D8402E 1800017E
	v_cvt_off_f32_i4_e32 v47, v46                              // 0000000055DC: 7E5E1D2E
	v_cvt_off_f32_i4_sdwa v48, v46 dst_sel:DWORD dst_unused:UNUSED_PRESERVE src0_sel:BYTE_2// 0000000055E0: 7E601CF9 0002162E
	v_cvt_pk_fp8_f32 v50, v47, v48                             // 0000000055E8: D2A20032 0002612F
	v_cvt_off_f32_i4_sdwa v47, v46 dst_sel:DWORD dst_unused:UNUSED_PRESERVE src0_sel:BYTE_1// 0000000055F0: 7E5E1CF9 0001162E
	v_cvt_off_f32_i4_sdwa v48, v46 dst_sel:DWORD dst_unused:UNUSED_PRESERVE src0_sel:BYTE_3// 0000000055F8: 7E601CF9 0003162E
	v_cvt_pk_fp8_f32 v51, v47, v48                             // 000000005600: D2A20033 0002612F
	v_lshrrev_b32_e32 v49, 4, v46                              // 000000005608: 20625C84
	v_cvt_off_f32_i4_e32 v47, v49                              // 00000000560C: 7E5E1D31
	v_cvt_off_f32_i4_sdwa v48, v49 dst_sel:DWORD dst_unused:UNUSED_PRESERVE src0_sel:BYTE_2// 000000005610: 7E601CF9 00021631
	v_cvt_pk_fp8_f32 v50, v47, v48 op_sel:[0,0,1]              // 000000005618: D2A24032 0002612F
	v_cvt_off_f32_i4_sdwa v47, v49 dst_sel:DWORD dst_unused:UNUSED_PRESERVE src0_sel:BYTE_1// 000000005620: 7E5E1CF9 00011631
	v_cvt_off_f32_i4_sdwa v48, v49 dst_sel:DWORD dst_unused:UNUSED_PRESERVE src0_sel:BYTE_3// 000000005628: 7E601CF9 00031631
	v_cvt_pk_fp8_f32 v51, v47, v48 op_sel:[0,0,1]              // 000000005630: D2A24033 0002612F
	v_accvgpr_write_b32 a124, v50                              // 000000005638: D3D9407C 18000132
	v_accvgpr_write_b32 a125, v51                              // 000000005640: D3D9407D 18000133
	s_nop 3                                                    // 000000005648: BF800003
	v_mfma_f32_16x16x32_fp8_fp8 v[88:91], a[124:125], v[172:173], v[88:91]// 00000000564C: D3F30058 0D63597C
	v_accvgpr_read_b32 v46, a127                               // 000000005654: D3D8402E 1800017F
	v_cvt_off_f32_i4_e32 v47, v46                              // 00000000565C: 7E5E1D2E
	v_cvt_off_f32_i4_sdwa v48, v46 dst_sel:DWORD dst_unused:UNUSED_PRESERVE src0_sel:BYTE_2// 000000005660: 7E601CF9 0002162E
	v_cvt_pk_fp8_f32 v50, v47, v48                             // 000000005668: D2A20032 0002612F
	v_cvt_off_f32_i4_sdwa v47, v46 dst_sel:DWORD dst_unused:UNUSED_PRESERVE src0_sel:BYTE_1// 000000005670: 7E5E1CF9 0001162E
	v_cvt_off_f32_i4_sdwa v48, v46 dst_sel:DWORD dst_unused:UNUSED_PRESERVE src0_sel:BYTE_3// 000000005678: 7E601CF9 0003162E
	v_cvt_pk_fp8_f32 v51, v47, v48                             // 000000005680: D2A20033 0002612F
	v_lshrrev_b32_e32 v49, 4, v46                              // 000000005688: 20625C84
	v_cvt_off_f32_i4_e32 v47, v49                              // 00000000568C: 7E5E1D31
	v_cvt_off_f32_i4_sdwa v48, v49 dst_sel:DWORD dst_unused:UNUSED_PRESERVE src0_sel:BYTE_2// 000000005690: 7E601CF9 00021631
	v_cvt_pk_fp8_f32 v50, v47, v48 op_sel:[0,0,1]              // 000000005698: D2A24032 0002612F
	v_cvt_off_f32_i4_sdwa v47, v49 dst_sel:DWORD dst_unused:UNUSED_PRESERVE src0_sel:BYTE_1// 0000000056A0: 7E5E1CF9 00011631
	v_cvt_off_f32_i4_sdwa v48, v49 dst_sel:DWORD dst_unused:UNUSED_PRESERVE src0_sel:BYTE_3// 0000000056A8: 7E601CF9 00031631
	v_cvt_pk_fp8_f32 v51, v47, v48 op_sel:[0,0,1]              // 0000000056B0: D2A24033 0002612F
	v_accvgpr_write_b32 a126, v50                              // 0000000056B8: D3D9407E 18000132
	v_accvgpr_write_b32 a127, v51                              // 0000000056C0: D3D9407F 18000133
	s_nop 3                                                    // 0000000056C8: BF800003
	v_mfma_f32_16x16x32_fp8_fp8 v[88:91], a[126:127], v[174:175], v[88:91]// 0000000056CC: D3F30058 0D635D7E
	ds_read_b128 v[212:215], v2 offset:9360                    // 0000000056D4: D9FE2490 D4000002
	v_mfma_f32_16x16x32_fp8_fp8 v[92:95], a[112:113], v[176:177], v[92:95]// 0000000056DC: D3F3005C 0D736170
	v_mfma_f32_16x16x32_fp8_fp8 v[92:95], a[114:115], v[178:179], v[92:95]// 0000000056E4: D3F3005C 0D736572
	buffer_load_dwordx4 a[60:63], v35, s[24:27], 0 offen offset:1024// 0000000056EC: E05C1400 80863C23
	v_mfma_f32_16x16x32_fp8_fp8 v[92:95], a[116:117], v[180:181], v[92:95]// 0000000056F4: D3F3005C 0D736974
	v_mfma_f32_16x16x32_fp8_fp8 v[92:95], a[118:119], v[182:183], v[92:95]// 0000000056FC: D3F3005C 0D736D76
	ds_read_b128 v[216:219], v2 offset:9472                    // 000000005704: D9FE2500 D8000002
	v_mfma_f32_16x16x32_fp8_fp8 v[92:95], a[120:121], v[184:185], v[92:95]// 00000000570C: D3F3005C 0D737178
	v_mfma_f32_16x16x32_fp8_fp8 v[92:95], a[122:123], v[186:187], v[92:95]// 000000005714: D3F3005C 0D73757A
	v_mfma_f32_16x16x32_fp8_fp8 v[92:95], a[124:125], v[188:189], v[92:95]// 00000000571C: D3F3005C 0D73797C
	v_mfma_f32_16x16x32_fp8_fp8 v[92:95], a[126:127], v[190:191], v[92:95]// 000000005724: D3F3005C 0D737D7E
	ds_read_b128 v[220:223], v2 offset:9488                    // 00000000572C: D9FE2510 DC000002
	s_add_u32 s60, 0x200, s80                                  // 000000005734: 803C50FF 00000200
	s_cmp_lt_u32 s60, s81                                      // 00000000573C: BF0A513C
	s_cselect_b32 s57, s57, 0                                  // 000000005740: 85398039
	s_add_u32 s60, 0x200, s80                                  // 000000005744: 803C50FF 00000200
	s_cmp_lt_u32 s60, s81                                      // 00000000574C: BF0A513C
	s_cselect_b32 s58, s58, 0                                  // 000000005750: 853A803A
	s_add_u32 s20, s57, s20                                    // 000000005754: 80141439
	s_addc_u32 s21, 0, s21                                     // 000000005758: 82151580
	s_add_u32 s24, s58, s24                                    // 00000000575C: 8018183A
	s_addc_u32 s25, 0, s25                                     // 000000005760: 82191980
	s_add_u32 s92, s90, s92                                    // 000000005764: 805C5C5A
	s_addc_u32 s93, 0, s93                                     // 000000005768: 825D5D80
	s_addk_i32 s80, 0x100                                      // 00000000576C: B7500100
	s_cmp_lt_i32 s80, s81                                      // 000000005770: BF045150
	s_cbranch_scc0 label_1407                                  // 000000005774: BF8408E9
	s_waitcnt vmcnt(4) lgkmcnt(0)                              // 000000005778: BF8C0074
	s_barrier                                                  // 00000000577C: BF8A0000
	v_accvgpr_read_b32 v46, a32                                // 000000005780: D3D8402E 18000120
	v_cvt_off_f32_i4_e32 v47, v46                              // 000000005788: 7E5E1D2E
	v_cvt_off_f32_i4_sdwa v48, v46 dst_sel:DWORD dst_unused:UNUSED_PRESERVE src0_sel:BYTE_2// 00000000578C: 7E601CF9 0002162E
	v_cvt_pk_fp8_f32 v50, v47, v48                             // 000000005794: D2A20032 0002612F
	v_cvt_off_f32_i4_sdwa v47, v46 dst_sel:DWORD dst_unused:UNUSED_PRESERVE src0_sel:BYTE_1// 00000000579C: 7E5E1CF9 0001162E
	v_cvt_off_f32_i4_sdwa v48, v46 dst_sel:DWORD dst_unused:UNUSED_PRESERVE src0_sel:BYTE_3// 0000000057A4: 7E601CF9 0003162E
	v_cvt_pk_fp8_f32 v51, v47, v48                             // 0000000057AC: D2A20033 0002612F
	v_lshrrev_b32_e32 v49, 4, v46                              // 0000000057B4: 20625C84
	v_cvt_off_f32_i4_e32 v47, v49                              // 0000000057B8: 7E5E1D31
	v_cvt_off_f32_i4_sdwa v48, v49 dst_sel:DWORD dst_unused:UNUSED_PRESERVE src0_sel:BYTE_2// 0000000057BC: 7E601CF9 00021631
	v_cvt_pk_fp8_f32 v50, v47, v48 op_sel:[0,0,1]              // 0000000057C4: D2A24032 0002612F
	v_cvt_off_f32_i4_sdwa v47, v49 dst_sel:DWORD dst_unused:UNUSED_PRESERVE src0_sel:BYTE_1// 0000000057CC: 7E5E1CF9 00011631
	v_cvt_off_f32_i4_sdwa v48, v49 dst_sel:DWORD dst_unused:UNUSED_PRESERVE src0_sel:BYTE_3// 0000000057D4: 7E601CF9 00031631
	v_cvt_pk_fp8_f32 v51, v47, v48 op_sel:[0,0,1]              // 0000000057DC: D2A24033 0002612F
	v_accvgpr_write_b32 a0, v50                                // 0000000057E4: D3D94000 18000132
	v_accvgpr_write_b32 a1, v51                                // 0000000057EC: D3D94001 18000133
	s_nop 3                                                    // 0000000057F4: BF800003
	v_mfma_f32_16x16x32_fp8_fp8 v[128:131], a[0:1], v[192:193], v[128:131]// 0000000057F8: D3F30080 0E038100
	v_accvgpr_read_b32 v46, a33                                // 000000005800: D3D8402E 18000121
	v_cvt_off_f32_i4_e32 v47, v46                              // 000000005808: 7E5E1D2E
	v_cvt_off_f32_i4_sdwa v48, v46 dst_sel:DWORD dst_unused:UNUSED_PRESERVE src0_sel:BYTE_2// 00000000580C: 7E601CF9 0002162E
	v_cvt_pk_fp8_f32 v50, v47, v48                             // 000000005814: D2A20032 0002612F
	v_cvt_off_f32_i4_sdwa v47, v46 dst_sel:DWORD dst_unused:UNUSED_PRESERVE src0_sel:BYTE_1// 00000000581C: 7E5E1CF9 0001162E
	v_cvt_off_f32_i4_sdwa v48, v46 dst_sel:DWORD dst_unused:UNUSED_PRESERVE src0_sel:BYTE_3// 000000005824: 7E601CF9 0003162E
	v_cvt_pk_fp8_f32 v51, v47, v48                             // 00000000582C: D2A20033 0002612F
	v_lshrrev_b32_e32 v49, 4, v46                              // 000000005834: 20625C84
	v_cvt_off_f32_i4_e32 v47, v49                              // 000000005838: 7E5E1D31
	v_cvt_off_f32_i4_sdwa v48, v49 dst_sel:DWORD dst_unused:UNUSED_PRESERVE src0_sel:BYTE_2// 00000000583C: 7E601CF9 00021631
	v_cvt_pk_fp8_f32 v50, v47, v48 op_sel:[0,0,1]              // 000000005844: D2A24032 0002612F
	v_cvt_off_f32_i4_sdwa v47, v49 dst_sel:DWORD dst_unused:UNUSED_PRESERVE src0_sel:BYTE_1// 00000000584C: 7E5E1CF9 00011631
	v_cvt_off_f32_i4_sdwa v48, v49 dst_sel:DWORD dst_unused:UNUSED_PRESERVE src0_sel:BYTE_3// 000000005854: 7E601CF9 00031631
	v_cvt_pk_fp8_f32 v51, v47, v48 op_sel:[0,0,1]              // 00000000585C: D2A24033 0002612F
	v_accvgpr_write_b32 a2, v50                                // 000000005864: D3D94002 18000132
	v_accvgpr_write_b32 a3, v51                                // 00000000586C: D3D94003 18000133
	s_nop 3                                                    // 000000005874: BF800003
	v_mfma_f32_16x16x32_fp8_fp8 v[128:131], a[2:3], v[194:195], v[128:131]// 000000005878: D3F30080 0E038502
	buffer_load_dwordx4 a[96:99], v32, s[92:95], 0 offen       // 000000005880: E05C1000 80976020
	v_accvgpr_read_b32 v46, a34                                // 000000005888: D3D8402E 18000122
	v_cvt_off_f32_i4_e32 v47, v46                              // 000000005890: 7E5E1D2E
	v_cvt_off_f32_i4_sdwa v48, v46 dst_sel:DWORD dst_unused:UNUSED_PRESERVE src0_sel:BYTE_2// 000000005894: 7E601CF9 0002162E
	v_cvt_pk_fp8_f32 v50, v47, v48                             // 00000000589C: D2A20032 0002612F
	v_cvt_off_f32_i4_sdwa v47, v46 dst_sel:DWORD dst_unused:UNUSED_PRESERVE src0_sel:BYTE_1// 0000000058A4: 7E5E1CF9 0001162E
	v_cvt_off_f32_i4_sdwa v48, v46 dst_sel:DWORD dst_unused:UNUSED_PRESERVE src0_sel:BYTE_3// 0000000058AC: 7E601CF9 0003162E
	v_cvt_pk_fp8_f32 v51, v47, v48                             // 0000000058B4: D2A20033 0002612F
	v_lshrrev_b32_e32 v49, 4, v46                              // 0000000058BC: 20625C84
	v_cvt_off_f32_i4_e32 v47, v49                              // 0000000058C0: 7E5E1D31
	v_cvt_off_f32_i4_sdwa v48, v49 dst_sel:DWORD dst_unused:UNUSED_PRESERVE src0_sel:BYTE_2// 0000000058C4: 7E601CF9 00021631
	v_cvt_pk_fp8_f32 v50, v47, v48 op_sel:[0,0,1]              // 0000000058CC: D2A24032 0002612F
	v_cvt_off_f32_i4_sdwa v47, v49 dst_sel:DWORD dst_unused:UNUSED_PRESERVE src0_sel:BYTE_1// 0000000058D4: 7E5E1CF9 00011631
	v_cvt_off_f32_i4_sdwa v48, v49 dst_sel:DWORD dst_unused:UNUSED_PRESERVE src0_sel:BYTE_3// 0000000058DC: 7E601CF9 00031631
	v_cvt_pk_fp8_f32 v51, v47, v48 op_sel:[0,0,1]              // 0000000058E4: D2A24033 0002612F
	v_accvgpr_write_b32 a4, v50                                // 0000000058EC: D3D94004 18000132
	v_accvgpr_write_b32 a5, v51                                // 0000000058F4: D3D94005 18000133
	s_nop 3                                                    // 0000000058FC: BF800003
	v_mfma_f32_16x16x32_fp8_fp8 v[128:131], a[4:5], v[196:197], v[128:131]// 000000005900: D3F30080 0E038904
	v_accvgpr_read_b32 v46, a35                                // 000000005908: D3D8402E 18000123
	v_cvt_off_f32_i4_e32 v47, v46                              // 000000005910: 7E5E1D2E
	v_cvt_off_f32_i4_sdwa v48, v46 dst_sel:DWORD dst_unused:UNUSED_PRESERVE src0_sel:BYTE_2// 000000005914: 7E601CF9 0002162E
	v_cvt_pk_fp8_f32 v50, v47, v48                             // 00000000591C: D2A20032 0002612F
	v_cvt_off_f32_i4_sdwa v47, v46 dst_sel:DWORD dst_unused:UNUSED_PRESERVE src0_sel:BYTE_1// 000000005924: 7E5E1CF9 0001162E
	v_cvt_off_f32_i4_sdwa v48, v46 dst_sel:DWORD dst_unused:UNUSED_PRESERVE src0_sel:BYTE_3// 00000000592C: 7E601CF9 0003162E
	v_cvt_pk_fp8_f32 v51, v47, v48                             // 000000005934: D2A20033 0002612F
	v_lshrrev_b32_e32 v49, 4, v46                              // 00000000593C: 20625C84
	v_cvt_off_f32_i4_e32 v47, v49                              // 000000005940: 7E5E1D31
	v_cvt_off_f32_i4_sdwa v48, v49 dst_sel:DWORD dst_unused:UNUSED_PRESERVE src0_sel:BYTE_2// 000000005944: 7E601CF9 00021631
	v_cvt_pk_fp8_f32 v50, v47, v48 op_sel:[0,0,1]              // 00000000594C: D2A24032 0002612F
	v_cvt_off_f32_i4_sdwa v47, v49 dst_sel:DWORD dst_unused:UNUSED_PRESERVE src0_sel:BYTE_1// 000000005954: 7E5E1CF9 00011631
	v_cvt_off_f32_i4_sdwa v48, v49 dst_sel:DWORD dst_unused:UNUSED_PRESERVE src0_sel:BYTE_3// 00000000595C: 7E601CF9 00031631
	v_cvt_pk_fp8_f32 v51, v47, v48 op_sel:[0,0,1]              // 000000005964: D2A24033 0002612F
	v_accvgpr_write_b32 a6, v50                                // 00000000596C: D3D94006 18000132
	v_accvgpr_write_b32 a7, v51                                // 000000005974: D3D94007 18000133
	s_nop 3                                                    // 00000000597C: BF800003
	v_mfma_f32_16x16x32_fp8_fp8 v[128:131], a[6:7], v[198:199], v[128:131]// 000000005980: D3F30080 0E038D06
	buffer_load_dword v24, s[20:23], 0 offen lds               // 000000005988: E0511000 80050018
	s_add_u32 m0, 0x100, s50                                   // 000000005990: 807C32FF 00000100
	v_accvgpr_read_b32 v46, a36                                // 000000005998: D3D8402E 18000124
	v_cvt_off_f32_i4_e32 v47, v46                              // 0000000059A0: 7E5E1D2E
	v_cvt_off_f32_i4_sdwa v48, v46 dst_sel:DWORD dst_unused:UNUSED_PRESERVE src0_sel:BYTE_2// 0000000059A4: 7E601CF9 0002162E
	v_cvt_pk_fp8_f32 v50, v47, v48                             // 0000000059AC: D2A20032 0002612F
	v_cvt_off_f32_i4_sdwa v47, v46 dst_sel:DWORD dst_unused:UNUSED_PRESERVE src0_sel:BYTE_1// 0000000059B4: 7E5E1CF9 0001162E
	v_cvt_off_f32_i4_sdwa v48, v46 dst_sel:DWORD dst_unused:UNUSED_PRESERVE src0_sel:BYTE_3// 0000000059BC: 7E601CF9 0003162E
	v_cvt_pk_fp8_f32 v51, v47, v48                             // 0000000059C4: D2A20033 0002612F
	v_lshrrev_b32_e32 v49, 4, v46                              // 0000000059CC: 20625C84
	v_cvt_off_f32_i4_e32 v47, v49                              // 0000000059D0: 7E5E1D31
	v_cvt_off_f32_i4_sdwa v48, v49 dst_sel:DWORD dst_unused:UNUSED_PRESERVE src0_sel:BYTE_2// 0000000059D4: 7E601CF9 00021631
	v_cvt_pk_fp8_f32 v50, v47, v48 op_sel:[0,0,1]              // 0000000059DC: D2A24032 0002612F
	v_cvt_off_f32_i4_sdwa v47, v49 dst_sel:DWORD dst_unused:UNUSED_PRESERVE src0_sel:BYTE_1// 0000000059E4: 7E5E1CF9 00011631
	v_cvt_off_f32_i4_sdwa v48, v49 dst_sel:DWORD dst_unused:UNUSED_PRESERVE src0_sel:BYTE_3// 0000000059EC: 7E601CF9 00031631
	v_cvt_pk_fp8_f32 v51, v47, v48 op_sel:[0,0,1]              // 0000000059F4: D2A24033 0002612F
	v_accvgpr_write_b32 a8, v50                                // 0000000059FC: D3D94008 18000132
	v_accvgpr_write_b32 a9, v51                                // 000000005A04: D3D94009 18000133
	s_nop 3                                                    // 000000005A0C: BF800003
	v_mfma_f32_16x16x32_fp8_fp8 v[128:131], a[8:9], v[200:201], v[128:131]// 000000005A10: D3F30080 0E039108
	v_accvgpr_read_b32 v46, a37                                // 000000005A18: D3D8402E 18000125
	v_cvt_off_f32_i4_e32 v47, v46                              // 000000005A20: 7E5E1D2E
	v_cvt_off_f32_i4_sdwa v48, v46 dst_sel:DWORD dst_unused:UNUSED_PRESERVE src0_sel:BYTE_2// 000000005A24: 7E601CF9 0002162E
	v_cvt_pk_fp8_f32 v50, v47, v48                             // 000000005A2C: D2A20032 0002612F
	v_cvt_off_f32_i4_sdwa v47, v46 dst_sel:DWORD dst_unused:UNUSED_PRESERVE src0_sel:BYTE_1// 000000005A34: 7E5E1CF9 0001162E
	v_cvt_off_f32_i4_sdwa v48, v46 dst_sel:DWORD dst_unused:UNUSED_PRESERVE src0_sel:BYTE_3// 000000005A3C: 7E601CF9 0003162E
	v_cvt_pk_fp8_f32 v51, v47, v48                             // 000000005A44: D2A20033 0002612F
	v_lshrrev_b32_e32 v49, 4, v46                              // 000000005A4C: 20625C84
	v_cvt_off_f32_i4_e32 v47, v49                              // 000000005A50: 7E5E1D31
	v_cvt_off_f32_i4_sdwa v48, v49 dst_sel:DWORD dst_unused:UNUSED_PRESERVE src0_sel:BYTE_2// 000000005A54: 7E601CF9 00021631
	v_cvt_pk_fp8_f32 v50, v47, v48 op_sel:[0,0,1]              // 000000005A5C: D2A24032 0002612F
	v_cvt_off_f32_i4_sdwa v47, v49 dst_sel:DWORD dst_unused:UNUSED_PRESERVE src0_sel:BYTE_1// 000000005A64: 7E5E1CF9 00011631
	v_cvt_off_f32_i4_sdwa v48, v49 dst_sel:DWORD dst_unused:UNUSED_PRESERVE src0_sel:BYTE_3// 000000005A6C: 7E601CF9 00031631
	v_cvt_pk_fp8_f32 v51, v47, v48 op_sel:[0,0,1]              // 000000005A74: D2A24033 0002612F
	v_accvgpr_write_b32 a10, v50                               // 000000005A7C: D3D9400A 18000132
	v_accvgpr_write_b32 a11, v51                               // 000000005A84: D3D9400B 18000133
	s_nop 3                                                    // 000000005A8C: BF800003
	v_mfma_f32_16x16x32_fp8_fp8 v[128:131], a[10:11], v[202:203], v[128:131]// 000000005A90: D3F30080 0E03950A
	v_accvgpr_read_b32 v46, a38                                // 000000005A98: D3D8402E 18000126
	v_cvt_off_f32_i4_e32 v47, v46                              // 000000005AA0: 7E5E1D2E
	v_cvt_off_f32_i4_sdwa v48, v46 dst_sel:DWORD dst_unused:UNUSED_PRESERVE src0_sel:BYTE_2// 000000005AA4: 7E601CF9 0002162E
	v_cvt_pk_fp8_f32 v50, v47, v48                             // 000000005AAC: D2A20032 0002612F
	v_cvt_off_f32_i4_sdwa v47, v46 dst_sel:DWORD dst_unused:UNUSED_PRESERVE src0_sel:BYTE_1// 000000005AB4: 7E5E1CF9 0001162E
	v_cvt_off_f32_i4_sdwa v48, v46 dst_sel:DWORD dst_unused:UNUSED_PRESERVE src0_sel:BYTE_3// 000000005ABC: 7E601CF9 0003162E
	v_cvt_pk_fp8_f32 v51, v47, v48                             // 000000005AC4: D2A20033 0002612F
	v_lshrrev_b32_e32 v49, 4, v46                              // 000000005ACC: 20625C84
	v_cvt_off_f32_i4_e32 v47, v49                              // 000000005AD0: 7E5E1D31
	v_cvt_off_f32_i4_sdwa v48, v49 dst_sel:DWORD dst_unused:UNUSED_PRESERVE src0_sel:BYTE_2// 000000005AD4: 7E601CF9 00021631
	v_cvt_pk_fp8_f32 v50, v47, v48 op_sel:[0,0,1]              // 000000005ADC: D2A24032 0002612F
	v_cvt_off_f32_i4_sdwa v47, v49 dst_sel:DWORD dst_unused:UNUSED_PRESERVE src0_sel:BYTE_1// 000000005AE4: 7E5E1CF9 00011631
	v_cvt_off_f32_i4_sdwa v48, v49 dst_sel:DWORD dst_unused:UNUSED_PRESERVE src0_sel:BYTE_3// 000000005AEC: 7E601CF9 00031631
	v_cvt_pk_fp8_f32 v51, v47, v48 op_sel:[0,0,1]              // 000000005AF4: D2A24033 0002612F
	v_accvgpr_write_b32 a12, v50                               // 000000005AFC: D3D9400C 18000132
	v_accvgpr_write_b32 a13, v51                               // 000000005B04: D3D9400D 18000133
	s_nop 3                                                    // 000000005B0C: BF800003
	v_mfma_f32_16x16x32_fp8_fp8 v[128:131], a[12:13], v[204:205], v[128:131]// 000000005B10: D3F30080 0E03990C
	v_accvgpr_read_b32 v46, a39                                // 000000005B18: D3D8402E 18000127
	v_cvt_off_f32_i4_e32 v47, v46                              // 000000005B20: 7E5E1D2E
	v_cvt_off_f32_i4_sdwa v48, v46 dst_sel:DWORD dst_unused:UNUSED_PRESERVE src0_sel:BYTE_2// 000000005B24: 7E601CF9 0002162E
	v_cvt_pk_fp8_f32 v50, v47, v48                             // 000000005B2C: D2A20032 0002612F
	v_cvt_off_f32_i4_sdwa v47, v46 dst_sel:DWORD dst_unused:UNUSED_PRESERVE src0_sel:BYTE_1// 000000005B34: 7E5E1CF9 0001162E
	v_cvt_off_f32_i4_sdwa v48, v46 dst_sel:DWORD dst_unused:UNUSED_PRESERVE src0_sel:BYTE_3// 000000005B3C: 7E601CF9 0003162E
	v_cvt_pk_fp8_f32 v51, v47, v48                             // 000000005B44: D2A20033 0002612F
	v_lshrrev_b32_e32 v49, 4, v46                              // 000000005B4C: 20625C84
	v_cvt_off_f32_i4_e32 v47, v49                              // 000000005B50: 7E5E1D31
	v_cvt_off_f32_i4_sdwa v48, v49 dst_sel:DWORD dst_unused:UNUSED_PRESERVE src0_sel:BYTE_2// 000000005B54: 7E601CF9 00021631
	v_cvt_pk_fp8_f32 v50, v47, v48 op_sel:[0,0,1]              // 000000005B5C: D2A24032 0002612F
	v_cvt_off_f32_i4_sdwa v47, v49 dst_sel:DWORD dst_unused:UNUSED_PRESERVE src0_sel:BYTE_1// 000000005B64: 7E5E1CF9 00011631
	v_cvt_off_f32_i4_sdwa v48, v49 dst_sel:DWORD dst_unused:UNUSED_PRESERVE src0_sel:BYTE_3// 000000005B6C: 7E601CF9 00031631
	v_cvt_pk_fp8_f32 v51, v47, v48 op_sel:[0,0,1]              // 000000005B74: D2A24033 0002612F
	v_accvgpr_write_b32 a14, v50                               // 000000005B7C: D3D9400E 18000132
	v_accvgpr_write_b32 a15, v51                               // 000000005B84: D3D9400F 18000133
	s_nop 3                                                    // 000000005B8C: BF800003
	v_mfma_f32_16x16x32_fp8_fp8 v[128:131], a[14:15], v[206:207], v[128:131]// 000000005B90: D3F30080 0E039D0E
	buffer_load_dword v25, s[20:23], 0 offen lds               // 000000005B98: E0511000 80050019
	s_add_u32 m0, 0x200, s50                                   // 000000005BA0: 807C32FF 00000200
	v_mfma_f32_16x16x32_fp8_fp8 v[132:135], a[0:1], v[208:209], v[132:135]// 000000005BA8: D3F30084 0E13A100
	v_mfma_f32_16x16x32_fp8_fp8 v[132:135], a[2:3], v[210:211], v[132:135]// 000000005BB0: D3F30084 0E13A502
	buffer_load_dwordx4 a[100:103], v32, s[92:95], 0 offen offset:1024// 000000005BB8: E05C1400 80976420
	v_mfma_f32_16x16x32_fp8_fp8 v[132:135], a[4:5], v[212:213], v[132:135]// 000000005BC0: D3F30084 0E13A904
	v_mfma_f32_16x16x32_fp8_fp8 v[132:135], a[6:7], v[214:215], v[132:135]// 000000005BC8: D3F30084 0E13AD06
	buffer_load_dword v26, s[20:23], 0 offen lds               // 000000005BD0: E0511000 8005001A
	s_add_u32 m0, 0x300, s50                                   // 000000005BD8: 807C32FF 00000300
	v_mfma_f32_16x16x32_fp8_fp8 v[132:135], a[8:9], v[216:217], v[132:135]// 000000005BE0: D3F30084 0E13B108
	v_mfma_f32_16x16x32_fp8_fp8 v[132:135], a[10:11], v[218:219], v[132:135]// 000000005BE8: D3F30084 0E13B50A
	v_mfma_f32_16x16x32_fp8_fp8 v[132:135], a[12:13], v[220:221], v[132:135]// 000000005BF0: D3F30084 0E13B90C
	v_mfma_f32_16x16x32_fp8_fp8 v[132:135], a[14:15], v[222:223], v[132:135]// 000000005BF8: D3F30084 0E13BD0E
	buffer_load_dword v27, s[20:23], 0 offen lds               // 000000005C00: E0511000 8005001B
	s_add_u32 m0, 0x400, s50                                   // 000000005C08: 807C32FF 00000400
	v_accvgpr_read_b32 v46, a40                                // 000000005C10: D3D8402E 18000128
	v_cvt_off_f32_i4_e32 v47, v46                              // 000000005C18: 7E5E1D2E
	v_cvt_off_f32_i4_sdwa v48, v46 dst_sel:DWORD dst_unused:UNUSED_PRESERVE src0_sel:BYTE_2// 000000005C1C: 7E601CF9 0002162E
	v_cvt_pk_fp8_f32 v50, v47, v48                             // 000000005C24: D2A20032 0002612F
	v_cvt_off_f32_i4_sdwa v47, v46 dst_sel:DWORD dst_unused:UNUSED_PRESERVE src0_sel:BYTE_1// 000000005C2C: 7E5E1CF9 0001162E
	v_cvt_off_f32_i4_sdwa v48, v46 dst_sel:DWORD dst_unused:UNUSED_PRESERVE src0_sel:BYTE_3// 000000005C34: 7E601CF9 0003162E
	v_cvt_pk_fp8_f32 v51, v47, v48                             // 000000005C3C: D2A20033 0002612F
	v_lshrrev_b32_e32 v49, 4, v46                              // 000000005C44: 20625C84
	v_cvt_off_f32_i4_e32 v47, v49                              // 000000005C48: 7E5E1D31
	v_cvt_off_f32_i4_sdwa v48, v49 dst_sel:DWORD dst_unused:UNUSED_PRESERVE src0_sel:BYTE_2// 000000005C4C: 7E601CF9 00021631
	v_cvt_pk_fp8_f32 v50, v47, v48 op_sel:[0,0,1]              // 000000005C54: D2A24032 0002612F
	v_cvt_off_f32_i4_sdwa v47, v49 dst_sel:DWORD dst_unused:UNUSED_PRESERVE src0_sel:BYTE_1// 000000005C5C: 7E5E1CF9 00011631
	v_cvt_off_f32_i4_sdwa v48, v49 dst_sel:DWORD dst_unused:UNUSED_PRESERVE src0_sel:BYTE_3// 000000005C64: 7E601CF9 00031631
	v_cvt_pk_fp8_f32 v51, v47, v48 op_sel:[0,0,1]              // 000000005C6C: D2A24033 0002612F
	v_accvgpr_write_b32 a16, v50                               // 000000005C74: D3D94010 18000132
	v_accvgpr_write_b32 a17, v51                               // 000000005C7C: D3D94011 18000133
	s_nop 3                                                    // 000000005C84: BF800003
	v_mfma_f32_16x16x32_fp8_fp8 v[136:139], a[16:17], v[192:193], v[136:139]// 000000005C88: D3F30088 0E238110
	v_accvgpr_read_b32 v46, a41                                // 000000005C90: D3D8402E 18000129
	v_cvt_off_f32_i4_e32 v47, v46                              // 000000005C98: 7E5E1D2E
	v_cvt_off_f32_i4_sdwa v48, v46 dst_sel:DWORD dst_unused:UNUSED_PRESERVE src0_sel:BYTE_2// 000000005C9C: 7E601CF9 0002162E
	v_cvt_pk_fp8_f32 v50, v47, v48                             // 000000005CA4: D2A20032 0002612F
	v_cvt_off_f32_i4_sdwa v47, v46 dst_sel:DWORD dst_unused:UNUSED_PRESERVE src0_sel:BYTE_1// 000000005CAC: 7E5E1CF9 0001162E
	v_cvt_off_f32_i4_sdwa v48, v46 dst_sel:DWORD dst_unused:UNUSED_PRESERVE src0_sel:BYTE_3// 000000005CB4: 7E601CF9 0003162E
	v_cvt_pk_fp8_f32 v51, v47, v48                             // 000000005CBC: D2A20033 0002612F
	v_lshrrev_b32_e32 v49, 4, v46                              // 000000005CC4: 20625C84
	v_cvt_off_f32_i4_e32 v47, v49                              // 000000005CC8: 7E5E1D31
	v_cvt_off_f32_i4_sdwa v48, v49 dst_sel:DWORD dst_unused:UNUSED_PRESERVE src0_sel:BYTE_2// 000000005CCC: 7E601CF9 00021631
	v_cvt_pk_fp8_f32 v50, v47, v48 op_sel:[0,0,1]              // 000000005CD4: D2A24032 0002612F
	v_cvt_off_f32_i4_sdwa v47, v49 dst_sel:DWORD dst_unused:UNUSED_PRESERVE src0_sel:BYTE_1// 000000005CDC: 7E5E1CF9 00011631
	v_cvt_off_f32_i4_sdwa v48, v49 dst_sel:DWORD dst_unused:UNUSED_PRESERVE src0_sel:BYTE_3// 000000005CE4: 7E601CF9 00031631
	v_cvt_pk_fp8_f32 v51, v47, v48 op_sel:[0,0,1]              // 000000005CEC: D2A24033 0002612F
	v_accvgpr_write_b32 a18, v50                               // 000000005CF4: D3D94012 18000132
	v_accvgpr_write_b32 a19, v51                               // 000000005CFC: D3D94013 18000133
	s_nop 3                                                    // 000000005D04: BF800003
	v_mfma_f32_16x16x32_fp8_fp8 v[136:139], a[18:19], v[194:195], v[136:139]// 000000005D08: D3F30088 0E238512
	buffer_load_dwordx4 a[104:107], v33, s[92:95], 0 offen     // 000000005D10: E05C1000 80976821
	v_accvgpr_read_b32 v46, a42                                // 000000005D18: D3D8402E 1800012A
	v_cvt_off_f32_i4_e32 v47, v46                              // 000000005D20: 7E5E1D2E
	v_cvt_off_f32_i4_sdwa v48, v46 dst_sel:DWORD dst_unused:UNUSED_PRESERVE src0_sel:BYTE_2// 000000005D24: 7E601CF9 0002162E
	v_cvt_pk_fp8_f32 v50, v47, v48                             // 000000005D2C: D2A20032 0002612F
	v_cvt_off_f32_i4_sdwa v47, v46 dst_sel:DWORD dst_unused:UNUSED_PRESERVE src0_sel:BYTE_1// 000000005D34: 7E5E1CF9 0001162E
	v_cvt_off_f32_i4_sdwa v48, v46 dst_sel:DWORD dst_unused:UNUSED_PRESERVE src0_sel:BYTE_3// 000000005D3C: 7E601CF9 0003162E
	v_cvt_pk_fp8_f32 v51, v47, v48                             // 000000005D44: D2A20033 0002612F
	v_lshrrev_b32_e32 v49, 4, v46                              // 000000005D4C: 20625C84
	v_cvt_off_f32_i4_e32 v47, v49                              // 000000005D50: 7E5E1D31
	v_cvt_off_f32_i4_sdwa v48, v49 dst_sel:DWORD dst_unused:UNUSED_PRESERVE src0_sel:BYTE_2// 000000005D54: 7E601CF9 00021631
	v_cvt_pk_fp8_f32 v50, v47, v48 op_sel:[0,0,1]              // 000000005D5C: D2A24032 0002612F
	v_cvt_off_f32_i4_sdwa v47, v49 dst_sel:DWORD dst_unused:UNUSED_PRESERVE src0_sel:BYTE_1// 000000005D64: 7E5E1CF9 00011631
	v_cvt_off_f32_i4_sdwa v48, v49 dst_sel:DWORD dst_unused:UNUSED_PRESERVE src0_sel:BYTE_3// 000000005D6C: 7E601CF9 00031631
	v_cvt_pk_fp8_f32 v51, v47, v48 op_sel:[0,0,1]              // 000000005D74: D2A24033 0002612F
	v_accvgpr_write_b32 a20, v50                               // 000000005D7C: D3D94014 18000132
	v_accvgpr_write_b32 a21, v51                               // 000000005D84: D3D94015 18000133
	s_nop 3                                                    // 000000005D8C: BF800003
	v_mfma_f32_16x16x32_fp8_fp8 v[136:139], a[20:21], v[196:197], v[136:139]// 000000005D90: D3F30088 0E238914
	v_accvgpr_read_b32 v46, a43                                // 000000005D98: D3D8402E 1800012B
	v_cvt_off_f32_i4_e32 v47, v46                              // 000000005DA0: 7E5E1D2E
	v_cvt_off_f32_i4_sdwa v48, v46 dst_sel:DWORD dst_unused:UNUSED_PRESERVE src0_sel:BYTE_2// 000000005DA4: 7E601CF9 0002162E
	v_cvt_pk_fp8_f32 v50, v47, v48                             // 000000005DAC: D2A20032 0002612F
	v_cvt_off_f32_i4_sdwa v47, v46 dst_sel:DWORD dst_unused:UNUSED_PRESERVE src0_sel:BYTE_1// 000000005DB4: 7E5E1CF9 0001162E
	v_cvt_off_f32_i4_sdwa v48, v46 dst_sel:DWORD dst_unused:UNUSED_PRESERVE src0_sel:BYTE_3// 000000005DBC: 7E601CF9 0003162E
	v_cvt_pk_fp8_f32 v51, v47, v48                             // 000000005DC4: D2A20033 0002612F
	v_lshrrev_b32_e32 v49, 4, v46                              // 000000005DCC: 20625C84
	v_cvt_off_f32_i4_e32 v47, v49                              // 000000005DD0: 7E5E1D31
	v_cvt_off_f32_i4_sdwa v48, v49 dst_sel:DWORD dst_unused:UNUSED_PRESERVE src0_sel:BYTE_2// 000000005DD4: 7E601CF9 00021631
	v_cvt_pk_fp8_f32 v50, v47, v48 op_sel:[0,0,1]              // 000000005DDC: D2A24032 0002612F
	v_cvt_off_f32_i4_sdwa v47, v49 dst_sel:DWORD dst_unused:UNUSED_PRESERVE src0_sel:BYTE_1// 000000005DE4: 7E5E1CF9 00011631
	v_cvt_off_f32_i4_sdwa v48, v49 dst_sel:DWORD dst_unused:UNUSED_PRESERVE src0_sel:BYTE_3// 000000005DEC: 7E601CF9 00031631
	v_cvt_pk_fp8_f32 v51, v47, v48 op_sel:[0,0,1]              // 000000005DF4: D2A24033 0002612F
	v_accvgpr_write_b32 a22, v50                               // 000000005DFC: D3D94016 18000132
	v_accvgpr_write_b32 a23, v51                               // 000000005E04: D3D94017 18000133
	s_nop 3                                                    // 000000005E0C: BF800003
	v_mfma_f32_16x16x32_fp8_fp8 v[136:139], a[22:23], v[198:199], v[136:139]// 000000005E10: D3F30088 0E238D16
	buffer_load_dword v28, s[20:23], 0 offen lds               // 000000005E18: E0511000 8005001C
	s_add_u32 m0, 0x500, s50                                   // 000000005E20: 807C32FF 00000500
	v_accvgpr_read_b32 v46, a44                                // 000000005E28: D3D8402E 1800012C
	v_cvt_off_f32_i4_e32 v47, v46                              // 000000005E30: 7E5E1D2E
	v_cvt_off_f32_i4_sdwa v48, v46 dst_sel:DWORD dst_unused:UNUSED_PRESERVE src0_sel:BYTE_2// 000000005E34: 7E601CF9 0002162E
	v_cvt_pk_fp8_f32 v50, v47, v48                             // 000000005E3C: D2A20032 0002612F
	v_cvt_off_f32_i4_sdwa v47, v46 dst_sel:DWORD dst_unused:UNUSED_PRESERVE src0_sel:BYTE_1// 000000005E44: 7E5E1CF9 0001162E
	v_cvt_off_f32_i4_sdwa v48, v46 dst_sel:DWORD dst_unused:UNUSED_PRESERVE src0_sel:BYTE_3// 000000005E4C: 7E601CF9 0003162E
	v_cvt_pk_fp8_f32 v51, v47, v48                             // 000000005E54: D2A20033 0002612F
	v_lshrrev_b32_e32 v49, 4, v46                              // 000000005E5C: 20625C84
	v_cvt_off_f32_i4_e32 v47, v49                              // 000000005E60: 7E5E1D31
	v_cvt_off_f32_i4_sdwa v48, v49 dst_sel:DWORD dst_unused:UNUSED_PRESERVE src0_sel:BYTE_2// 000000005E64: 7E601CF9 00021631
	v_cvt_pk_fp8_f32 v50, v47, v48 op_sel:[0,0,1]              // 000000005E6C: D2A24032 0002612F
	v_cvt_off_f32_i4_sdwa v47, v49 dst_sel:DWORD dst_unused:UNUSED_PRESERVE src0_sel:BYTE_1// 000000005E74: 7E5E1CF9 00011631
	v_cvt_off_f32_i4_sdwa v48, v49 dst_sel:DWORD dst_unused:UNUSED_PRESERVE src0_sel:BYTE_3// 000000005E7C: 7E601CF9 00031631
	v_cvt_pk_fp8_f32 v51, v47, v48 op_sel:[0,0,1]              // 000000005E84: D2A24033 0002612F
	v_accvgpr_write_b32 a24, v50                               // 000000005E8C: D3D94018 18000132
	v_accvgpr_write_b32 a25, v51                               // 000000005E94: D3D94019 18000133
	s_nop 3                                                    // 000000005E9C: BF800003
	v_mfma_f32_16x16x32_fp8_fp8 v[136:139], a[24:25], v[200:201], v[136:139]// 000000005EA0: D3F30088 0E239118
	v_accvgpr_read_b32 v46, a45                                // 000000005EA8: D3D8402E 1800012D
	v_cvt_off_f32_i4_e32 v47, v46                              // 000000005EB0: 7E5E1D2E
	v_cvt_off_f32_i4_sdwa v48, v46 dst_sel:DWORD dst_unused:UNUSED_PRESERVE src0_sel:BYTE_2// 000000005EB4: 7E601CF9 0002162E
	v_cvt_pk_fp8_f32 v50, v47, v48                             // 000000005EBC: D2A20032 0002612F
	v_cvt_off_f32_i4_sdwa v47, v46 dst_sel:DWORD dst_unused:UNUSED_PRESERVE src0_sel:BYTE_1// 000000005EC4: 7E5E1CF9 0001162E
	v_cvt_off_f32_i4_sdwa v48, v46 dst_sel:DWORD dst_unused:UNUSED_PRESERVE src0_sel:BYTE_3// 000000005ECC: 7E601CF9 0003162E
	v_cvt_pk_fp8_f32 v51, v47, v48                             // 000000005ED4: D2A20033 0002612F
	v_lshrrev_b32_e32 v49, 4, v46                              // 000000005EDC: 20625C84
	v_cvt_off_f32_i4_e32 v47, v49                              // 000000005EE0: 7E5E1D31
	v_cvt_off_f32_i4_sdwa v48, v49 dst_sel:DWORD dst_unused:UNUSED_PRESERVE src0_sel:BYTE_2// 000000005EE4: 7E601CF9 00021631
	v_cvt_pk_fp8_f32 v50, v47, v48 op_sel:[0,0,1]              // 000000005EEC: D2A24032 0002612F
	v_cvt_off_f32_i4_sdwa v47, v49 dst_sel:DWORD dst_unused:UNUSED_PRESERVE src0_sel:BYTE_1// 000000005EF4: 7E5E1CF9 00011631
	v_cvt_off_f32_i4_sdwa v48, v49 dst_sel:DWORD dst_unused:UNUSED_PRESERVE src0_sel:BYTE_3// 000000005EFC: 7E601CF9 00031631
	v_cvt_pk_fp8_f32 v51, v47, v48 op_sel:[0,0,1]              // 000000005F04: D2A24033 0002612F
	v_accvgpr_write_b32 a26, v50                               // 000000005F0C: D3D9401A 18000132
	v_accvgpr_write_b32 a27, v51                               // 000000005F14: D3D9401B 18000133
	s_nop 3                                                    // 000000005F1C: BF800003
	v_mfma_f32_16x16x32_fp8_fp8 v[136:139], a[26:27], v[202:203], v[136:139]// 000000005F20: D3F30088 0E23951A
	v_accvgpr_read_b32 v46, a46                                // 000000005F28: D3D8402E 1800012E
	v_cvt_off_f32_i4_e32 v47, v46                              // 000000005F30: 7E5E1D2E
	v_cvt_off_f32_i4_sdwa v48, v46 dst_sel:DWORD dst_unused:UNUSED_PRESERVE src0_sel:BYTE_2// 000000005F34: 7E601CF9 0002162E
	v_cvt_pk_fp8_f32 v50, v47, v48                             // 000000005F3C: D2A20032 0002612F
	v_cvt_off_f32_i4_sdwa v47, v46 dst_sel:DWORD dst_unused:UNUSED_PRESERVE src0_sel:BYTE_1// 000000005F44: 7E5E1CF9 0001162E
	v_cvt_off_f32_i4_sdwa v48, v46 dst_sel:DWORD dst_unused:UNUSED_PRESERVE src0_sel:BYTE_3// 000000005F4C: 7E601CF9 0003162E
	v_cvt_pk_fp8_f32 v51, v47, v48                             // 000000005F54: D2A20033 0002612F
	v_lshrrev_b32_e32 v49, 4, v46                              // 000000005F5C: 20625C84
	v_cvt_off_f32_i4_e32 v47, v49                              // 000000005F60: 7E5E1D31
	v_cvt_off_f32_i4_sdwa v48, v49 dst_sel:DWORD dst_unused:UNUSED_PRESERVE src0_sel:BYTE_2// 000000005F64: 7E601CF9 00021631
	v_cvt_pk_fp8_f32 v50, v47, v48 op_sel:[0,0,1]              // 000000005F6C: D2A24032 0002612F
	v_cvt_off_f32_i4_sdwa v47, v49 dst_sel:DWORD dst_unused:UNUSED_PRESERVE src0_sel:BYTE_1// 000000005F74: 7E5E1CF9 00011631
	v_cvt_off_f32_i4_sdwa v48, v49 dst_sel:DWORD dst_unused:UNUSED_PRESERVE src0_sel:BYTE_3// 000000005F7C: 7E601CF9 00031631
	v_cvt_pk_fp8_f32 v51, v47, v48 op_sel:[0,0,1]              // 000000005F84: D2A24033 0002612F
	v_accvgpr_write_b32 a28, v50                               // 000000005F8C: D3D9401C 18000132
	v_accvgpr_write_b32 a29, v51                               // 000000005F94: D3D9401D 18000133
	s_nop 3                                                    // 000000005F9C: BF800003
	v_mfma_f32_16x16x32_fp8_fp8 v[136:139], a[28:29], v[204:205], v[136:139]// 000000005FA0: D3F30088 0E23991C
	v_accvgpr_read_b32 v46, a47                                // 000000005FA8: D3D8402E 1800012F
	v_cvt_off_f32_i4_e32 v47, v46                              // 000000005FB0: 7E5E1D2E
	v_cvt_off_f32_i4_sdwa v48, v46 dst_sel:DWORD dst_unused:UNUSED_PRESERVE src0_sel:BYTE_2// 000000005FB4: 7E601CF9 0002162E
	v_cvt_pk_fp8_f32 v50, v47, v48                             // 000000005FBC: D2A20032 0002612F
	v_cvt_off_f32_i4_sdwa v47, v46 dst_sel:DWORD dst_unused:UNUSED_PRESERVE src0_sel:BYTE_1// 000000005FC4: 7E5E1CF9 0001162E
	v_cvt_off_f32_i4_sdwa v48, v46 dst_sel:DWORD dst_unused:UNUSED_PRESERVE src0_sel:BYTE_3// 000000005FCC: 7E601CF9 0003162E
	v_cvt_pk_fp8_f32 v51, v47, v48                             // 000000005FD4: D2A20033 0002612F
	v_lshrrev_b32_e32 v49, 4, v46                              // 000000005FDC: 20625C84
	v_cvt_off_f32_i4_e32 v47, v49                              // 000000005FE0: 7E5E1D31
	v_cvt_off_f32_i4_sdwa v48, v49 dst_sel:DWORD dst_unused:UNUSED_PRESERVE src0_sel:BYTE_2// 000000005FE4: 7E601CF9 00021631
	v_cvt_pk_fp8_f32 v50, v47, v48 op_sel:[0,0,1]              // 000000005FEC: D2A24032 0002612F
	v_cvt_off_f32_i4_sdwa v47, v49 dst_sel:DWORD dst_unused:UNUSED_PRESERVE src0_sel:BYTE_1// 000000005FF4: 7E5E1CF9 00011631
	v_cvt_off_f32_i4_sdwa v48, v49 dst_sel:DWORD dst_unused:UNUSED_PRESERVE src0_sel:BYTE_3// 000000005FFC: 7E601CF9 00031631
	v_cvt_pk_fp8_f32 v51, v47, v48 op_sel:[0,0,1]              // 000000006004: D2A24033 0002612F
	v_accvgpr_write_b32 a30, v50                               // 00000000600C: D3D9401E 18000132
	v_accvgpr_write_b32 a31, v51                               // 000000006014: D3D9401F 18000133
	s_nop 3                                                    // 00000000601C: BF800003
	v_mfma_f32_16x16x32_fp8_fp8 v[136:139], a[30:31], v[206:207], v[136:139]// 000000006020: D3F30088 0E239D1E
	buffer_load_dword v29, s[20:23], 0 offen lds               // 000000006028: E0511000 8005001D
	s_add_u32 m0, 0x600, s50                                   // 000000006030: 807C32FF 00000600
	v_mfma_f32_16x16x32_fp8_fp8 v[140:143], a[16:17], v[208:209], v[140:143]// 000000006038: D3F3008C 0E33A110
	v_mfma_f32_16x16x32_fp8_fp8 v[140:143], a[18:19], v[210:211], v[140:143]// 000000006040: D3F3008C 0E33A512
	buffer_load_dwordx4 a[108:111], v33, s[92:95], 0 offen offset:1024// 000000006048: E05C1400 80976C21
	v_mfma_f32_16x16x32_fp8_fp8 v[140:143], a[20:21], v[212:213], v[140:143]// 000000006050: D3F3008C 0E33A914
	v_mfma_f32_16x16x32_fp8_fp8 v[140:143], a[22:23], v[214:215], v[140:143]// 000000006058: D3F3008C 0E33AD16
	buffer_load_dword v30, s[20:23], 0 offen lds               // 000000006060: E0511000 8005001E
	s_add_u32 m0, 0x700, s50                                   // 000000006068: 807C32FF 00000700
	v_mfma_f32_16x16x32_fp8_fp8 v[140:143], a[24:25], v[216:217], v[140:143]// 000000006070: D3F3008C 0E33B118
	v_mfma_f32_16x16x32_fp8_fp8 v[140:143], a[26:27], v[218:219], v[140:143]// 000000006078: D3F3008C 0E33B51A
	v_mfma_f32_16x16x32_fp8_fp8 v[140:143], a[28:29], v[220:221], v[140:143]// 000000006080: D3F3008C 0E33B91C
	v_mfma_f32_16x16x32_fp8_fp8 v[140:143], a[30:31], v[222:223], v[140:143]// 000000006088: D3F3008C 0E33BD1E
	buffer_load_dword v31, s[20:23], 0 offen lds               // 000000006090: E0511000 8005001F
	s_add_u32 m0, 0, s51                                       // 000000006098: 807C3380
	s_waitcnt vmcnt(14)                                        // 00000000609C: BF8C0F7E
	v_accvgpr_read_b32 v46, a48                                // 0000000060A0: D3D8402E 18000130
	v_cvt_off_f32_i4_e32 v47, v46                              // 0000000060A8: 7E5E1D2E
	v_cvt_off_f32_i4_sdwa v48, v46 dst_sel:DWORD dst_unused:UNUSED_PRESERVE src0_sel:BYTE_2// 0000000060AC: 7E601CF9 0002162E
	v_cvt_pk_fp8_f32 v50, v47, v48                             // 0000000060B4: D2A20032 0002612F
	v_cvt_off_f32_i4_sdwa v47, v46 dst_sel:DWORD dst_unused:UNUSED_PRESERVE src0_sel:BYTE_1// 0000000060BC: 7E5E1CF9 0001162E
	v_cvt_off_f32_i4_sdwa v48, v46 dst_sel:DWORD dst_unused:UNUSED_PRESERVE src0_sel:BYTE_3// 0000000060C4: 7E601CF9 0003162E
	v_cvt_pk_fp8_f32 v51, v47, v48                             // 0000000060CC: D2A20033 0002612F
	v_lshrrev_b32_e32 v49, 4, v46                              // 0000000060D4: 20625C84
	v_cvt_off_f32_i4_e32 v47, v49                              // 0000000060D8: 7E5E1D31
	v_cvt_off_f32_i4_sdwa v48, v49 dst_sel:DWORD dst_unused:UNUSED_PRESERVE src0_sel:BYTE_2// 0000000060DC: 7E601CF9 00021631
	v_cvt_pk_fp8_f32 v50, v47, v48 op_sel:[0,0,1]              // 0000000060E4: D2A24032 0002612F
	v_cvt_off_f32_i4_sdwa v47, v49 dst_sel:DWORD dst_unused:UNUSED_PRESERVE src0_sel:BYTE_1// 0000000060EC: 7E5E1CF9 00011631
	v_cvt_off_f32_i4_sdwa v48, v49 dst_sel:DWORD dst_unused:UNUSED_PRESERVE src0_sel:BYTE_3// 0000000060F4: 7E601CF9 00031631
	v_cvt_pk_fp8_f32 v51, v47, v48 op_sel:[0,0,1]              // 0000000060FC: D2A24033 0002612F
	v_accvgpr_write_b32 a32, v50                               // 000000006104: D3D94020 18000132
	v_accvgpr_write_b32 a33, v51                               // 00000000610C: D3D94021 18000133
	s_nop 3                                                    // 000000006114: BF800003
	v_mfma_f32_16x16x32_fp8_fp8 v[144:147], a[32:33], v[192:193], v[144:147]// 000000006118: D3F30090 0E438120
	v_accvgpr_read_b32 v46, a49                                // 000000006120: D3D8402E 18000131
	v_cvt_off_f32_i4_e32 v47, v46                              // 000000006128: 7E5E1D2E
	v_cvt_off_f32_i4_sdwa v48, v46 dst_sel:DWORD dst_unused:UNUSED_PRESERVE src0_sel:BYTE_2// 00000000612C: 7E601CF9 0002162E
	v_cvt_pk_fp8_f32 v50, v47, v48                             // 000000006134: D2A20032 0002612F
	v_cvt_off_f32_i4_sdwa v47, v46 dst_sel:DWORD dst_unused:UNUSED_PRESERVE src0_sel:BYTE_1// 00000000613C: 7E5E1CF9 0001162E
	v_cvt_off_f32_i4_sdwa v48, v46 dst_sel:DWORD dst_unused:UNUSED_PRESERVE src0_sel:BYTE_3// 000000006144: 7E601CF9 0003162E
	v_cvt_pk_fp8_f32 v51, v47, v48                             // 00000000614C: D2A20033 0002612F
	v_lshrrev_b32_e32 v49, 4, v46                              // 000000006154: 20625C84
	v_cvt_off_f32_i4_e32 v47, v49                              // 000000006158: 7E5E1D31
	v_cvt_off_f32_i4_sdwa v48, v49 dst_sel:DWORD dst_unused:UNUSED_PRESERVE src0_sel:BYTE_2// 00000000615C: 7E601CF9 00021631
	v_cvt_pk_fp8_f32 v50, v47, v48 op_sel:[0,0,1]              // 000000006164: D2A24032 0002612F
	v_cvt_off_f32_i4_sdwa v47, v49 dst_sel:DWORD dst_unused:UNUSED_PRESERVE src0_sel:BYTE_1// 00000000616C: 7E5E1CF9 00011631
	v_cvt_off_f32_i4_sdwa v48, v49 dst_sel:DWORD dst_unused:UNUSED_PRESERVE src0_sel:BYTE_3// 000000006174: 7E601CF9 00031631
	v_cvt_pk_fp8_f32 v51, v47, v48 op_sel:[0,0,1]              // 00000000617C: D2A24033 0002612F
	v_accvgpr_write_b32 a34, v50                               // 000000006184: D3D94022 18000132
	v_accvgpr_write_b32 a35, v51                               // 00000000618C: D3D94023 18000133
	s_nop 3                                                    // 000000006194: BF800003
	v_mfma_f32_16x16x32_fp8_fp8 v[144:147], a[34:35], v[194:195], v[144:147]// 000000006198: D3F30090 0E438522
	buffer_load_dwordx4 a[112:115], v34, s[92:95], 0 offen     // 0000000061A0: E05C1000 80977022
	v_accvgpr_read_b32 v46, a50                                // 0000000061A8: D3D8402E 18000132
	v_cvt_off_f32_i4_e32 v47, v46                              // 0000000061B0: 7E5E1D2E
	v_cvt_off_f32_i4_sdwa v48, v46 dst_sel:DWORD dst_unused:UNUSED_PRESERVE src0_sel:BYTE_2// 0000000061B4: 7E601CF9 0002162E
	v_cvt_pk_fp8_f32 v50, v47, v48                             // 0000000061BC: D2A20032 0002612F
	v_cvt_off_f32_i4_sdwa v47, v46 dst_sel:DWORD dst_unused:UNUSED_PRESERVE src0_sel:BYTE_1// 0000000061C4: 7E5E1CF9 0001162E
	v_cvt_off_f32_i4_sdwa v48, v46 dst_sel:DWORD dst_unused:UNUSED_PRESERVE src0_sel:BYTE_3// 0000000061CC: 7E601CF9 0003162E
	v_cvt_pk_fp8_f32 v51, v47, v48                             // 0000000061D4: D2A20033 0002612F
	v_lshrrev_b32_e32 v49, 4, v46                              // 0000000061DC: 20625C84
	v_cvt_off_f32_i4_e32 v47, v49                              // 0000000061E0: 7E5E1D31
	v_cvt_off_f32_i4_sdwa v48, v49 dst_sel:DWORD dst_unused:UNUSED_PRESERVE src0_sel:BYTE_2// 0000000061E4: 7E601CF9 00021631
	v_cvt_pk_fp8_f32 v50, v47, v48 op_sel:[0,0,1]              // 0000000061EC: D2A24032 0002612F
	v_cvt_off_f32_i4_sdwa v47, v49 dst_sel:DWORD dst_unused:UNUSED_PRESERVE src0_sel:BYTE_1// 0000000061F4: 7E5E1CF9 00011631
	v_cvt_off_f32_i4_sdwa v48, v49 dst_sel:DWORD dst_unused:UNUSED_PRESERVE src0_sel:BYTE_3// 0000000061FC: 7E601CF9 00031631
	v_cvt_pk_fp8_f32 v51, v47, v48 op_sel:[0,0,1]              // 000000006204: D2A24033 0002612F
	v_accvgpr_write_b32 a36, v50                               // 00000000620C: D3D94024 18000132
	v_accvgpr_write_b32 a37, v51                               // 000000006214: D3D94025 18000133
	s_nop 3                                                    // 00000000621C: BF800003
	v_mfma_f32_16x16x32_fp8_fp8 v[144:147], a[36:37], v[196:197], v[144:147]// 000000006220: D3F30090 0E438924
	v_accvgpr_read_b32 v46, a51                                // 000000006228: D3D8402E 18000133
	v_cvt_off_f32_i4_e32 v47, v46                              // 000000006230: 7E5E1D2E
	v_cvt_off_f32_i4_sdwa v48, v46 dst_sel:DWORD dst_unused:UNUSED_PRESERVE src0_sel:BYTE_2// 000000006234: 7E601CF9 0002162E
	v_cvt_pk_fp8_f32 v50, v47, v48                             // 00000000623C: D2A20032 0002612F
	v_cvt_off_f32_i4_sdwa v47, v46 dst_sel:DWORD dst_unused:UNUSED_PRESERVE src0_sel:BYTE_1// 000000006244: 7E5E1CF9 0001162E
	v_cvt_off_f32_i4_sdwa v48, v46 dst_sel:DWORD dst_unused:UNUSED_PRESERVE src0_sel:BYTE_3// 00000000624C: 7E601CF9 0003162E
	v_cvt_pk_fp8_f32 v51, v47, v48                             // 000000006254: D2A20033 0002612F
	v_lshrrev_b32_e32 v49, 4, v46                              // 00000000625C: 20625C84
	v_cvt_off_f32_i4_e32 v47, v49                              // 000000006260: 7E5E1D31
	v_cvt_off_f32_i4_sdwa v48, v49 dst_sel:DWORD dst_unused:UNUSED_PRESERVE src0_sel:BYTE_2// 000000006264: 7E601CF9 00021631
	v_cvt_pk_fp8_f32 v50, v47, v48 op_sel:[0,0,1]              // 00000000626C: D2A24032 0002612F
	v_cvt_off_f32_i4_sdwa v47, v49 dst_sel:DWORD dst_unused:UNUSED_PRESERVE src0_sel:BYTE_1// 000000006274: 7E5E1CF9 00011631
	v_cvt_off_f32_i4_sdwa v48, v49 dst_sel:DWORD dst_unused:UNUSED_PRESERVE src0_sel:BYTE_3// 00000000627C: 7E601CF9 00031631
	v_cvt_pk_fp8_f32 v51, v47, v48 op_sel:[0,0,1]              // 000000006284: D2A24033 0002612F
	v_accvgpr_write_b32 a38, v50                               // 00000000628C: D3D94026 18000132
	v_accvgpr_write_b32 a39, v51                               // 000000006294: D3D94027 18000133
	s_nop 3                                                    // 00000000629C: BF800003
	v_mfma_f32_16x16x32_fp8_fp8 v[144:147], a[38:39], v[198:199], v[144:147]// 0000000062A0: D3F30090 0E438D26
	v_accvgpr_read_b32 v46, a52                                // 0000000062A8: D3D8402E 18000134
	v_cvt_off_f32_i4_e32 v47, v46                              // 0000000062B0: 7E5E1D2E
	v_cvt_off_f32_i4_sdwa v48, v46 dst_sel:DWORD dst_unused:UNUSED_PRESERVE src0_sel:BYTE_2// 0000000062B4: 7E601CF9 0002162E
	v_cvt_pk_fp8_f32 v50, v47, v48                             // 0000000062BC: D2A20032 0002612F
	v_cvt_off_f32_i4_sdwa v47, v46 dst_sel:DWORD dst_unused:UNUSED_PRESERVE src0_sel:BYTE_1// 0000000062C4: 7E5E1CF9 0001162E
	v_cvt_off_f32_i4_sdwa v48, v46 dst_sel:DWORD dst_unused:UNUSED_PRESERVE src0_sel:BYTE_3// 0000000062CC: 7E601CF9 0003162E
	v_cvt_pk_fp8_f32 v51, v47, v48                             // 0000000062D4: D2A20033 0002612F
	v_lshrrev_b32_e32 v49, 4, v46                              // 0000000062DC: 20625C84
	v_cvt_off_f32_i4_e32 v47, v49                              // 0000000062E0: 7E5E1D31
	v_cvt_off_f32_i4_sdwa v48, v49 dst_sel:DWORD dst_unused:UNUSED_PRESERVE src0_sel:BYTE_2// 0000000062E4: 7E601CF9 00021631
	v_cvt_pk_fp8_f32 v50, v47, v48 op_sel:[0,0,1]              // 0000000062EC: D2A24032 0002612F
	v_cvt_off_f32_i4_sdwa v47, v49 dst_sel:DWORD dst_unused:UNUSED_PRESERVE src0_sel:BYTE_1// 0000000062F4: 7E5E1CF9 00011631
	v_cvt_off_f32_i4_sdwa v48, v49 dst_sel:DWORD dst_unused:UNUSED_PRESERVE src0_sel:BYTE_3// 0000000062FC: 7E601CF9 00031631
	v_cvt_pk_fp8_f32 v51, v47, v48 op_sel:[0,0,1]              // 000000006304: D2A24033 0002612F
	v_accvgpr_write_b32 a40, v50                               // 00000000630C: D3D94028 18000132
	v_accvgpr_write_b32 a41, v51                               // 000000006314: D3D94029 18000133
	s_nop 3                                                    // 00000000631C: BF800003
	v_mfma_f32_16x16x32_fp8_fp8 v[144:147], a[40:41], v[200:201], v[144:147]// 000000006320: D3F30090 0E439128
	v_accvgpr_read_b32 v46, a53                                // 000000006328: D3D8402E 18000135
	v_cvt_off_f32_i4_e32 v47, v46                              // 000000006330: 7E5E1D2E
	v_cvt_off_f32_i4_sdwa v48, v46 dst_sel:DWORD dst_unused:UNUSED_PRESERVE src0_sel:BYTE_2// 000000006334: 7E601CF9 0002162E
	v_cvt_pk_fp8_f32 v50, v47, v48                             // 00000000633C: D2A20032 0002612F
	v_cvt_off_f32_i4_sdwa v47, v46 dst_sel:DWORD dst_unused:UNUSED_PRESERVE src0_sel:BYTE_1// 000000006344: 7E5E1CF9 0001162E
	v_cvt_off_f32_i4_sdwa v48, v46 dst_sel:DWORD dst_unused:UNUSED_PRESERVE src0_sel:BYTE_3// 00000000634C: 7E601CF9 0003162E
	v_cvt_pk_fp8_f32 v51, v47, v48                             // 000000006354: D2A20033 0002612F
	v_lshrrev_b32_e32 v49, 4, v46                              // 00000000635C: 20625C84
	v_cvt_off_f32_i4_e32 v47, v49                              // 000000006360: 7E5E1D31
	v_cvt_off_f32_i4_sdwa v48, v49 dst_sel:DWORD dst_unused:UNUSED_PRESERVE src0_sel:BYTE_2// 000000006364: 7E601CF9 00021631
	v_cvt_pk_fp8_f32 v50, v47, v48 op_sel:[0,0,1]              // 00000000636C: D2A24032 0002612F
	v_cvt_off_f32_i4_sdwa v47, v49 dst_sel:DWORD dst_unused:UNUSED_PRESERVE src0_sel:BYTE_1// 000000006374: 7E5E1CF9 00011631
	v_cvt_off_f32_i4_sdwa v48, v49 dst_sel:DWORD dst_unused:UNUSED_PRESERVE src0_sel:BYTE_3// 00000000637C: 7E601CF9 00031631
	v_cvt_pk_fp8_f32 v51, v47, v48 op_sel:[0,0,1]              // 000000006384: D2A24033 0002612F
	v_accvgpr_write_b32 a42, v50                               // 00000000638C: D3D9402A 18000132
	v_accvgpr_write_b32 a43, v51                               // 000000006394: D3D9402B 18000133
	s_nop 3                                                    // 00000000639C: BF800003
	v_mfma_f32_16x16x32_fp8_fp8 v[144:147], a[42:43], v[202:203], v[144:147]// 0000000063A0: D3F30090 0E43952A
	v_accvgpr_read_b32 v46, a54                                // 0000000063A8: D3D8402E 18000136
	v_cvt_off_f32_i4_e32 v47, v46                              // 0000000063B0: 7E5E1D2E
	v_cvt_off_f32_i4_sdwa v48, v46 dst_sel:DWORD dst_unused:UNUSED_PRESERVE src0_sel:BYTE_2// 0000000063B4: 7E601CF9 0002162E
	v_cvt_pk_fp8_f32 v50, v47, v48                             // 0000000063BC: D2A20032 0002612F
	v_cvt_off_f32_i4_sdwa v47, v46 dst_sel:DWORD dst_unused:UNUSED_PRESERVE src0_sel:BYTE_1// 0000000063C4: 7E5E1CF9 0001162E
	v_cvt_off_f32_i4_sdwa v48, v46 dst_sel:DWORD dst_unused:UNUSED_PRESERVE src0_sel:BYTE_3// 0000000063CC: 7E601CF9 0003162E
	v_cvt_pk_fp8_f32 v51, v47, v48                             // 0000000063D4: D2A20033 0002612F
	v_lshrrev_b32_e32 v49, 4, v46                              // 0000000063DC: 20625C84
	v_cvt_off_f32_i4_e32 v47, v49                              // 0000000063E0: 7E5E1D31
	v_cvt_off_f32_i4_sdwa v48, v49 dst_sel:DWORD dst_unused:UNUSED_PRESERVE src0_sel:BYTE_2// 0000000063E4: 7E601CF9 00021631
	v_cvt_pk_fp8_f32 v50, v47, v48 op_sel:[0,0,1]              // 0000000063EC: D2A24032 0002612F
	v_cvt_off_f32_i4_sdwa v47, v49 dst_sel:DWORD dst_unused:UNUSED_PRESERVE src0_sel:BYTE_1// 0000000063F4: 7E5E1CF9 00011631
	v_cvt_off_f32_i4_sdwa v48, v49 dst_sel:DWORD dst_unused:UNUSED_PRESERVE src0_sel:BYTE_3// 0000000063FC: 7E601CF9 00031631
	v_cvt_pk_fp8_f32 v51, v47, v48 op_sel:[0,0,1]              // 000000006404: D2A24033 0002612F
	v_accvgpr_write_b32 a44, v50                               // 00000000640C: D3D9402C 18000132
	v_accvgpr_write_b32 a45, v51                               // 000000006414: D3D9402D 18000133
	s_nop 3                                                    // 00000000641C: BF800003
	v_mfma_f32_16x16x32_fp8_fp8 v[144:147], a[44:45], v[204:205], v[144:147]// 000000006420: D3F30090 0E43992C
	v_accvgpr_read_b32 v46, a55                                // 000000006428: D3D8402E 18000137
	v_cvt_off_f32_i4_e32 v47, v46                              // 000000006430: 7E5E1D2E
	v_cvt_off_f32_i4_sdwa v48, v46 dst_sel:DWORD dst_unused:UNUSED_PRESERVE src0_sel:BYTE_2// 000000006434: 7E601CF9 0002162E
	v_cvt_pk_fp8_f32 v50, v47, v48                             // 00000000643C: D2A20032 0002612F
	v_cvt_off_f32_i4_sdwa v47, v46 dst_sel:DWORD dst_unused:UNUSED_PRESERVE src0_sel:BYTE_1// 000000006444: 7E5E1CF9 0001162E
	v_cvt_off_f32_i4_sdwa v48, v46 dst_sel:DWORD dst_unused:UNUSED_PRESERVE src0_sel:BYTE_3// 00000000644C: 7E601CF9 0003162E
	v_cvt_pk_fp8_f32 v51, v47, v48                             // 000000006454: D2A20033 0002612F
	v_lshrrev_b32_e32 v49, 4, v46                              // 00000000645C: 20625C84
	v_cvt_off_f32_i4_e32 v47, v49                              // 000000006460: 7E5E1D31
	v_cvt_off_f32_i4_sdwa v48, v49 dst_sel:DWORD dst_unused:UNUSED_PRESERVE src0_sel:BYTE_2// 000000006464: 7E601CF9 00021631
	v_cvt_pk_fp8_f32 v50, v47, v48 op_sel:[0,0,1]              // 00000000646C: D2A24032 0002612F
	v_cvt_off_f32_i4_sdwa v47, v49 dst_sel:DWORD dst_unused:UNUSED_PRESERVE src0_sel:BYTE_1// 000000006474: 7E5E1CF9 00011631
	v_cvt_off_f32_i4_sdwa v48, v49 dst_sel:DWORD dst_unused:UNUSED_PRESERVE src0_sel:BYTE_3// 00000000647C: 7E601CF9 00031631
	v_cvt_pk_fp8_f32 v51, v47, v48 op_sel:[0,0,1]              // 000000006484: D2A24033 0002612F
	v_accvgpr_write_b32 a46, v50                               // 00000000648C: D3D9402E 18000132
	v_accvgpr_write_b32 a47, v51                               // 000000006494: D3D9402F 18000133
	s_nop 3                                                    // 00000000649C: BF800003
	v_mfma_f32_16x16x32_fp8_fp8 v[144:147], a[46:47], v[206:207], v[144:147]// 0000000064A0: D3F30090 0E439D2E
	v_mfma_f32_16x16x32_fp8_fp8 v[148:151], a[32:33], v[208:209], v[148:151]// 0000000064A8: D3F30094 0E53A120
	v_mfma_f32_16x16x32_fp8_fp8 v[148:151], a[34:35], v[210:211], v[148:151]// 0000000064B0: D3F30094 0E53A522
	buffer_load_dwordx4 a[116:119], v34, s[92:95], 0 offen offset:1024// 0000000064B8: E05C1400 80977422
	v_mfma_f32_16x16x32_fp8_fp8 v[148:151], a[36:37], v[212:213], v[148:151]// 0000000064C0: D3F30094 0E53A924
	v_mfma_f32_16x16x32_fp8_fp8 v[148:151], a[38:39], v[214:215], v[148:151]// 0000000064C8: D3F30094 0E53AD26
	v_mfma_f32_16x16x32_fp8_fp8 v[148:151], a[40:41], v[216:217], v[148:151]// 0000000064D0: D3F30094 0E53B128
	v_mfma_f32_16x16x32_fp8_fp8 v[148:151], a[42:43], v[218:219], v[148:151]// 0000000064D8: D3F30094 0E53B52A
	v_mfma_f32_16x16x32_fp8_fp8 v[148:151], a[44:45], v[220:221], v[148:151]// 0000000064E0: D3F30094 0E53B92C
	v_mfma_f32_16x16x32_fp8_fp8 v[148:151], a[46:47], v[222:223], v[148:151]// 0000000064E8: D3F30094 0E53BD2E
	s_waitcnt vmcnt(14)                                        // 0000000064F0: BF8C0F7E
	v_accvgpr_read_b32 v46, a56                                // 0000000064F4: D3D8402E 18000138
	v_cvt_off_f32_i4_e32 v47, v46                              // 0000000064FC: 7E5E1D2E
	v_cvt_off_f32_i4_sdwa v48, v46 dst_sel:DWORD dst_unused:UNUSED_PRESERVE src0_sel:BYTE_2// 000000006500: 7E601CF9 0002162E
	v_cvt_pk_fp8_f32 v50, v47, v48                             // 000000006508: D2A20032 0002612F
	v_cvt_off_f32_i4_sdwa v47, v46 dst_sel:DWORD dst_unused:UNUSED_PRESERVE src0_sel:BYTE_1// 000000006510: 7E5E1CF9 0001162E
	v_cvt_off_f32_i4_sdwa v48, v46 dst_sel:DWORD dst_unused:UNUSED_PRESERVE src0_sel:BYTE_3// 000000006518: 7E601CF9 0003162E
	v_cvt_pk_fp8_f32 v51, v47, v48                             // 000000006520: D2A20033 0002612F
	v_lshrrev_b32_e32 v49, 4, v46                              // 000000006528: 20625C84
	v_cvt_off_f32_i4_e32 v47, v49                              // 00000000652C: 7E5E1D31
	v_cvt_off_f32_i4_sdwa v48, v49 dst_sel:DWORD dst_unused:UNUSED_PRESERVE src0_sel:BYTE_2// 000000006530: 7E601CF9 00021631
	v_cvt_pk_fp8_f32 v50, v47, v48 op_sel:[0,0,1]              // 000000006538: D2A24032 0002612F
	v_cvt_off_f32_i4_sdwa v47, v49 dst_sel:DWORD dst_unused:UNUSED_PRESERVE src0_sel:BYTE_1// 000000006540: 7E5E1CF9 00011631
	v_cvt_off_f32_i4_sdwa v48, v49 dst_sel:DWORD dst_unused:UNUSED_PRESERVE src0_sel:BYTE_3// 000000006548: 7E601CF9 00031631
	v_cvt_pk_fp8_f32 v51, v47, v48 op_sel:[0,0,1]              // 000000006550: D2A24033 0002612F
	v_accvgpr_write_b32 a48, v50                               // 000000006558: D3D94030 18000132
	v_accvgpr_write_b32 a49, v51                               // 000000006560: D3D94031 18000133
	s_nop 3                                                    // 000000006568: BF800003
	v_mfma_f32_16x16x32_fp8_fp8 v[152:155], a[48:49], v[192:193], v[152:155]// 00000000656C: D3F30098 0E638130
	v_accvgpr_read_b32 v46, a57                                // 000000006574: D3D8402E 18000139
	v_cvt_off_f32_i4_e32 v47, v46                              // 00000000657C: 7E5E1D2E
	v_cvt_off_f32_i4_sdwa v48, v46 dst_sel:DWORD dst_unused:UNUSED_PRESERVE src0_sel:BYTE_2// 000000006580: 7E601CF9 0002162E
	v_cvt_pk_fp8_f32 v50, v47, v48                             // 000000006588: D2A20032 0002612F
	v_cvt_off_f32_i4_sdwa v47, v46 dst_sel:DWORD dst_unused:UNUSED_PRESERVE src0_sel:BYTE_1// 000000006590: 7E5E1CF9 0001162E
	v_cvt_off_f32_i4_sdwa v48, v46 dst_sel:DWORD dst_unused:UNUSED_PRESERVE src0_sel:BYTE_3// 000000006598: 7E601CF9 0003162E
	v_cvt_pk_fp8_f32 v51, v47, v48                             // 0000000065A0: D2A20033 0002612F
	v_lshrrev_b32_e32 v49, 4, v46                              // 0000000065A8: 20625C84
	v_cvt_off_f32_i4_e32 v47, v49                              // 0000000065AC: 7E5E1D31
	v_cvt_off_f32_i4_sdwa v48, v49 dst_sel:DWORD dst_unused:UNUSED_PRESERVE src0_sel:BYTE_2// 0000000065B0: 7E601CF9 00021631
	v_cvt_pk_fp8_f32 v50, v47, v48 op_sel:[0,0,1]              // 0000000065B8: D2A24032 0002612F
	v_cvt_off_f32_i4_sdwa v47, v49 dst_sel:DWORD dst_unused:UNUSED_PRESERVE src0_sel:BYTE_1// 0000000065C0: 7E5E1CF9 00011631
	v_cvt_off_f32_i4_sdwa v48, v49 dst_sel:DWORD dst_unused:UNUSED_PRESERVE src0_sel:BYTE_3// 0000000065C8: 7E601CF9 00031631
	v_cvt_pk_fp8_f32 v51, v47, v48 op_sel:[0,0,1]              // 0000000065D0: D2A24033 0002612F
	v_accvgpr_write_b32 a50, v50                               // 0000000065D8: D3D94032 18000132
	v_accvgpr_write_b32 a51, v51                               // 0000000065E0: D3D94033 18000133
	s_nop 3                                                    // 0000000065E8: BF800003
	v_mfma_f32_16x16x32_fp8_fp8 v[152:155], a[50:51], v[194:195], v[152:155]// 0000000065EC: D3F30098 0E638532
	buffer_load_dwordx4 a[120:123], v35, s[92:95], 0 offen     // 0000000065F4: E05C1000 80977823
	v_accvgpr_read_b32 v46, a58                                // 0000000065FC: D3D8402E 1800013A
	v_cvt_off_f32_i4_e32 v47, v46                              // 000000006604: 7E5E1D2E
	v_cvt_off_f32_i4_sdwa v48, v46 dst_sel:DWORD dst_unused:UNUSED_PRESERVE src0_sel:BYTE_2// 000000006608: 7E601CF9 0002162E
	v_cvt_pk_fp8_f32 v50, v47, v48                             // 000000006610: D2A20032 0002612F
	v_cvt_off_f32_i4_sdwa v47, v46 dst_sel:DWORD dst_unused:UNUSED_PRESERVE src0_sel:BYTE_1// 000000006618: 7E5E1CF9 0001162E
	v_cvt_off_f32_i4_sdwa v48, v46 dst_sel:DWORD dst_unused:UNUSED_PRESERVE src0_sel:BYTE_3// 000000006620: 7E601CF9 0003162E
	v_cvt_pk_fp8_f32 v51, v47, v48                             // 000000006628: D2A20033 0002612F
	v_lshrrev_b32_e32 v49, 4, v46                              // 000000006630: 20625C84
	v_cvt_off_f32_i4_e32 v47, v49                              // 000000006634: 7E5E1D31
	v_cvt_off_f32_i4_sdwa v48, v49 dst_sel:DWORD dst_unused:UNUSED_PRESERVE src0_sel:BYTE_2// 000000006638: 7E601CF9 00021631
	v_cvt_pk_fp8_f32 v50, v47, v48 op_sel:[0,0,1]              // 000000006640: D2A24032 0002612F
	v_cvt_off_f32_i4_sdwa v47, v49 dst_sel:DWORD dst_unused:UNUSED_PRESERVE src0_sel:BYTE_1// 000000006648: 7E5E1CF9 00011631
	v_cvt_off_f32_i4_sdwa v48, v49 dst_sel:DWORD dst_unused:UNUSED_PRESERVE src0_sel:BYTE_3// 000000006650: 7E601CF9 00031631
	v_cvt_pk_fp8_f32 v51, v47, v48 op_sel:[0,0,1]              // 000000006658: D2A24033 0002612F
	v_accvgpr_write_b32 a52, v50                               // 000000006660: D3D94034 18000132
	v_accvgpr_write_b32 a53, v51                               // 000000006668: D3D94035 18000133
	s_nop 3                                                    // 000000006670: BF800003
	v_mfma_f32_16x16x32_fp8_fp8 v[152:155], a[52:53], v[196:197], v[152:155]// 000000006674: D3F30098 0E638934
	v_accvgpr_read_b32 v46, a59                                // 00000000667C: D3D8402E 1800013B
	v_cvt_off_f32_i4_e32 v47, v46                              // 000000006684: 7E5E1D2E
	v_cvt_off_f32_i4_sdwa v48, v46 dst_sel:DWORD dst_unused:UNUSED_PRESERVE src0_sel:BYTE_2// 000000006688: 7E601CF9 0002162E
	v_cvt_pk_fp8_f32 v50, v47, v48                             // 000000006690: D2A20032 0002612F
	v_cvt_off_f32_i4_sdwa v47, v46 dst_sel:DWORD dst_unused:UNUSED_PRESERVE src0_sel:BYTE_1// 000000006698: 7E5E1CF9 0001162E
	v_cvt_off_f32_i4_sdwa v48, v46 dst_sel:DWORD dst_unused:UNUSED_PRESERVE src0_sel:BYTE_3// 0000000066A0: 7E601CF9 0003162E
	v_cvt_pk_fp8_f32 v51, v47, v48                             // 0000000066A8: D2A20033 0002612F
	v_lshrrev_b32_e32 v49, 4, v46                              // 0000000066B0: 20625C84
	v_cvt_off_f32_i4_e32 v47, v49                              // 0000000066B4: 7E5E1D31
	v_cvt_off_f32_i4_sdwa v48, v49 dst_sel:DWORD dst_unused:UNUSED_PRESERVE src0_sel:BYTE_2// 0000000066B8: 7E601CF9 00021631
	v_cvt_pk_fp8_f32 v50, v47, v48 op_sel:[0,0,1]              // 0000000066C0: D2A24032 0002612F
	v_cvt_off_f32_i4_sdwa v47, v49 dst_sel:DWORD dst_unused:UNUSED_PRESERVE src0_sel:BYTE_1// 0000000066C8: 7E5E1CF9 00011631
	v_cvt_off_f32_i4_sdwa v48, v49 dst_sel:DWORD dst_unused:UNUSED_PRESERVE src0_sel:BYTE_3// 0000000066D0: 7E601CF9 00031631
	v_cvt_pk_fp8_f32 v51, v47, v48 op_sel:[0,0,1]              // 0000000066D8: D2A24033 0002612F
	v_accvgpr_write_b32 a54, v50                               // 0000000066E0: D3D94036 18000132
	v_accvgpr_write_b32 a55, v51                               // 0000000066E8: D3D94037 18000133
	s_nop 3                                                    // 0000000066F0: BF800003
	v_mfma_f32_16x16x32_fp8_fp8 v[152:155], a[54:55], v[198:199], v[152:155]// 0000000066F4: D3F30098 0E638D36
	v_accvgpr_read_b32 v46, a60                                // 0000000066FC: D3D8402E 1800013C
	v_cvt_off_f32_i4_e32 v47, v46                              // 000000006704: 7E5E1D2E
	v_cvt_off_f32_i4_sdwa v48, v46 dst_sel:DWORD dst_unused:UNUSED_PRESERVE src0_sel:BYTE_2// 000000006708: 7E601CF9 0002162E
	v_cvt_pk_fp8_f32 v50, v47, v48                             // 000000006710: D2A20032 0002612F
	v_cvt_off_f32_i4_sdwa v47, v46 dst_sel:DWORD dst_unused:UNUSED_PRESERVE src0_sel:BYTE_1// 000000006718: 7E5E1CF9 0001162E
	v_cvt_off_f32_i4_sdwa v48, v46 dst_sel:DWORD dst_unused:UNUSED_PRESERVE src0_sel:BYTE_3// 000000006720: 7E601CF9 0003162E
	v_cvt_pk_fp8_f32 v51, v47, v48                             // 000000006728: D2A20033 0002612F
	v_lshrrev_b32_e32 v49, 4, v46                              // 000000006730: 20625C84
	v_cvt_off_f32_i4_e32 v47, v49                              // 000000006734: 7E5E1D31
	v_cvt_off_f32_i4_sdwa v48, v49 dst_sel:DWORD dst_unused:UNUSED_PRESERVE src0_sel:BYTE_2// 000000006738: 7E601CF9 00021631
	v_cvt_pk_fp8_f32 v50, v47, v48 op_sel:[0,0,1]              // 000000006740: D2A24032 0002612F
	v_cvt_off_f32_i4_sdwa v47, v49 dst_sel:DWORD dst_unused:UNUSED_PRESERVE src0_sel:BYTE_1// 000000006748: 7E5E1CF9 00011631
	v_cvt_off_f32_i4_sdwa v48, v49 dst_sel:DWORD dst_unused:UNUSED_PRESERVE src0_sel:BYTE_3// 000000006750: 7E601CF9 00031631
	v_cvt_pk_fp8_f32 v51, v47, v48 op_sel:[0,0,1]              // 000000006758: D2A24033 0002612F
	v_accvgpr_write_b32 a56, v50                               // 000000006760: D3D94038 18000132
	v_accvgpr_write_b32 a57, v51                               // 000000006768: D3D94039 18000133
	s_nop 3                                                    // 000000006770: BF800003
	v_mfma_f32_16x16x32_fp8_fp8 v[152:155], a[56:57], v[200:201], v[152:155]// 000000006774: D3F30098 0E639138
	v_accvgpr_read_b32 v46, a61                                // 00000000677C: D3D8402E 1800013D
	v_cvt_off_f32_i4_e32 v47, v46                              // 000000006784: 7E5E1D2E
	v_cvt_off_f32_i4_sdwa v48, v46 dst_sel:DWORD dst_unused:UNUSED_PRESERVE src0_sel:BYTE_2// 000000006788: 7E601CF9 0002162E
	v_cvt_pk_fp8_f32 v50, v47, v48                             // 000000006790: D2A20032 0002612F
	v_cvt_off_f32_i4_sdwa v47, v46 dst_sel:DWORD dst_unused:UNUSED_PRESERVE src0_sel:BYTE_1// 000000006798: 7E5E1CF9 0001162E
	v_cvt_off_f32_i4_sdwa v48, v46 dst_sel:DWORD dst_unused:UNUSED_PRESERVE src0_sel:BYTE_3// 0000000067A0: 7E601CF9 0003162E
	v_cvt_pk_fp8_f32 v51, v47, v48                             // 0000000067A8: D2A20033 0002612F
	v_lshrrev_b32_e32 v49, 4, v46                              // 0000000067B0: 20625C84
	v_cvt_off_f32_i4_e32 v47, v49                              // 0000000067B4: 7E5E1D31
	v_cvt_off_f32_i4_sdwa v48, v49 dst_sel:DWORD dst_unused:UNUSED_PRESERVE src0_sel:BYTE_2// 0000000067B8: 7E601CF9 00021631
	v_cvt_pk_fp8_f32 v50, v47, v48 op_sel:[0,0,1]              // 0000000067C0: D2A24032 0002612F
	v_cvt_off_f32_i4_sdwa v47, v49 dst_sel:DWORD dst_unused:UNUSED_PRESERVE src0_sel:BYTE_1// 0000000067C8: 7E5E1CF9 00011631
	v_cvt_off_f32_i4_sdwa v48, v49 dst_sel:DWORD dst_unused:UNUSED_PRESERVE src0_sel:BYTE_3// 0000000067D0: 7E601CF9 00031631
	v_cvt_pk_fp8_f32 v51, v47, v48 op_sel:[0,0,1]              // 0000000067D8: D2A24033 0002612F
	v_accvgpr_write_b32 a58, v50                               // 0000000067E0: D3D9403A 18000132
	v_accvgpr_write_b32 a59, v51                               // 0000000067E8: D3D9403B 18000133
	s_nop 3                                                    // 0000000067F0: BF800003
	v_mfma_f32_16x16x32_fp8_fp8 v[152:155], a[58:59], v[202:203], v[152:155]// 0000000067F4: D3F30098 0E63953A
	v_accvgpr_read_b32 v46, a62                                // 0000000067FC: D3D8402E 1800013E
	v_cvt_off_f32_i4_e32 v47, v46                              // 000000006804: 7E5E1D2E
	v_cvt_off_f32_i4_sdwa v48, v46 dst_sel:DWORD dst_unused:UNUSED_PRESERVE src0_sel:BYTE_2// 000000006808: 7E601CF9 0002162E
	v_cvt_pk_fp8_f32 v50, v47, v48                             // 000000006810: D2A20032 0002612F
	v_cvt_off_f32_i4_sdwa v47, v46 dst_sel:DWORD dst_unused:UNUSED_PRESERVE src0_sel:BYTE_1// 000000006818: 7E5E1CF9 0001162E
	v_cvt_off_f32_i4_sdwa v48, v46 dst_sel:DWORD dst_unused:UNUSED_PRESERVE src0_sel:BYTE_3// 000000006820: 7E601CF9 0003162E
	v_cvt_pk_fp8_f32 v51, v47, v48                             // 000000006828: D2A20033 0002612F
	v_lshrrev_b32_e32 v49, 4, v46                              // 000000006830: 20625C84
	v_cvt_off_f32_i4_e32 v47, v49                              // 000000006834: 7E5E1D31
	v_cvt_off_f32_i4_sdwa v48, v49 dst_sel:DWORD dst_unused:UNUSED_PRESERVE src0_sel:BYTE_2// 000000006838: 7E601CF9 00021631
	v_cvt_pk_fp8_f32 v50, v47, v48 op_sel:[0,0,1]              // 000000006840: D2A24032 0002612F
	v_cvt_off_f32_i4_sdwa v47, v49 dst_sel:DWORD dst_unused:UNUSED_PRESERVE src0_sel:BYTE_1// 000000006848: 7E5E1CF9 00011631
	v_cvt_off_f32_i4_sdwa v48, v49 dst_sel:DWORD dst_unused:UNUSED_PRESERVE src0_sel:BYTE_3// 000000006850: 7E601CF9 00031631
	v_cvt_pk_fp8_f32 v51, v47, v48 op_sel:[0,0,1]              // 000000006858: D2A24033 0002612F
	v_accvgpr_write_b32 a60, v50                               // 000000006860: D3D9403C 18000132
	v_accvgpr_write_b32 a61, v51                               // 000000006868: D3D9403D 18000133
	s_nop 3                                                    // 000000006870: BF800003
	v_mfma_f32_16x16x32_fp8_fp8 v[152:155], a[60:61], v[204:205], v[152:155]// 000000006874: D3F30098 0E63993C
	v_accvgpr_read_b32 v46, a63                                // 00000000687C: D3D8402E 1800013F
	v_cvt_off_f32_i4_e32 v47, v46                              // 000000006884: 7E5E1D2E
	v_cvt_off_f32_i4_sdwa v48, v46 dst_sel:DWORD dst_unused:UNUSED_PRESERVE src0_sel:BYTE_2// 000000006888: 7E601CF9 0002162E
	v_cvt_pk_fp8_f32 v50, v47, v48                             // 000000006890: D2A20032 0002612F
	v_cvt_off_f32_i4_sdwa v47, v46 dst_sel:DWORD dst_unused:UNUSED_PRESERVE src0_sel:BYTE_1// 000000006898: 7E5E1CF9 0001162E
	v_cvt_off_f32_i4_sdwa v48, v46 dst_sel:DWORD dst_unused:UNUSED_PRESERVE src0_sel:BYTE_3// 0000000068A0: 7E601CF9 0003162E
	v_cvt_pk_fp8_f32 v51, v47, v48                             // 0000000068A8: D2A20033 0002612F
	v_lshrrev_b32_e32 v49, 4, v46                              // 0000000068B0: 20625C84
	v_cvt_off_f32_i4_e32 v47, v49                              // 0000000068B4: 7E5E1D31
	v_cvt_off_f32_i4_sdwa v48, v49 dst_sel:DWORD dst_unused:UNUSED_PRESERVE src0_sel:BYTE_2// 0000000068B8: 7E601CF9 00021631
	v_cvt_pk_fp8_f32 v50, v47, v48 op_sel:[0,0,1]              // 0000000068C0: D2A24032 0002612F
	v_cvt_off_f32_i4_sdwa v47, v49 dst_sel:DWORD dst_unused:UNUSED_PRESERVE src0_sel:BYTE_1// 0000000068C8: 7E5E1CF9 00011631
	v_cvt_off_f32_i4_sdwa v48, v49 dst_sel:DWORD dst_unused:UNUSED_PRESERVE src0_sel:BYTE_3// 0000000068D0: 7E601CF9 00031631
	v_cvt_pk_fp8_f32 v51, v47, v48 op_sel:[0,0,1]              // 0000000068D8: D2A24033 0002612F
	v_accvgpr_write_b32 a62, v50                               // 0000000068E0: D3D9403E 18000132
	v_accvgpr_write_b32 a63, v51                               // 0000000068E8: D3D9403F 18000133
	s_nop 3                                                    // 0000000068F0: BF800003
	v_mfma_f32_16x16x32_fp8_fp8 v[152:155], a[62:63], v[206:207], v[152:155]// 0000000068F4: D3F30098 0E639D3E
	v_mfma_f32_16x16x32_fp8_fp8 v[156:159], a[48:49], v[208:209], v[156:159]// 0000000068FC: D3F3009C 0E73A130
	v_mfma_f32_16x16x32_fp8_fp8 v[156:159], a[50:51], v[210:211], v[156:159]// 000000006904: D3F3009C 0E73A532
	buffer_load_dwordx4 a[124:127], v35, s[92:95], 0 offen offset:1024// 00000000690C: E05C1400 80977C23
	v_mfma_f32_16x16x32_fp8_fp8 v[156:159], a[52:53], v[212:213], v[156:159]// 000000006914: D3F3009C 0E73A934
	v_mfma_f32_16x16x32_fp8_fp8 v[156:159], a[54:55], v[214:215], v[156:159]// 00000000691C: D3F3009C 0E73AD36
	v_mfma_f32_16x16x32_fp8_fp8 v[156:159], a[56:57], v[216:217], v[156:159]// 000000006924: D3F3009C 0E73B138
	v_mfma_f32_16x16x32_fp8_fp8 v[156:159], a[58:59], v[218:219], v[156:159]// 00000000692C: D3F3009C 0E73B53A
	v_mfma_f32_16x16x32_fp8_fp8 v[156:159], a[60:61], v[220:221], v[156:159]// 000000006934: D3F3009C 0E73B93C
	v_mfma_f32_16x16x32_fp8_fp8 v[156:159], a[62:63], v[222:223], v[156:159]// 00000000693C: D3F3009C 0E73BD3E
	s_waitcnt vmcnt(4)                                         // 000000006944: BF8C0F74
	s_barrier                                                  // 000000006948: BF8A0000
	v_accvgpr_read_b32 v46, a96                                // 00000000694C: D3D8402E 18000160
	v_cvt_off_f32_i4_e32 v47, v46                              // 000000006954: 7E5E1D2E
	v_cvt_off_f32_i4_sdwa v48, v46 dst_sel:DWORD dst_unused:UNUSED_PRESERVE src0_sel:BYTE_2// 000000006958: 7E601CF9 0002162E
	v_cvt_pk_fp8_f32 v50, v47, v48                             // 000000006960: D2A20032 0002612F
	v_cvt_off_f32_i4_sdwa v47, v46 dst_sel:DWORD dst_unused:UNUSED_PRESERVE src0_sel:BYTE_1// 000000006968: 7E5E1CF9 0001162E
	v_cvt_off_f32_i4_sdwa v48, v46 dst_sel:DWORD dst_unused:UNUSED_PRESERVE src0_sel:BYTE_3// 000000006970: 7E601CF9 0003162E
	v_cvt_pk_fp8_f32 v51, v47, v48                             // 000000006978: D2A20033 0002612F
	v_lshrrev_b32_e32 v49, 4, v46                              // 000000006980: 20625C84
	v_cvt_off_f32_i4_e32 v47, v49                              // 000000006984: 7E5E1D31
	v_cvt_off_f32_i4_sdwa v48, v49 dst_sel:DWORD dst_unused:UNUSED_PRESERVE src0_sel:BYTE_2// 000000006988: 7E601CF9 00021631
	v_cvt_pk_fp8_f32 v50, v47, v48 op_sel:[0,0,1]              // 000000006990: D2A24032 0002612F
	v_cvt_off_f32_i4_sdwa v47, v49 dst_sel:DWORD dst_unused:UNUSED_PRESERVE src0_sel:BYTE_1// 000000006998: 7E5E1CF9 00011631
	v_cvt_off_f32_i4_sdwa v48, v49 dst_sel:DWORD dst_unused:UNUSED_PRESERVE src0_sel:BYTE_3// 0000000069A0: 7E601CF9 00031631
	v_cvt_pk_fp8_f32 v51, v47, v48 op_sel:[0,0,1]              // 0000000069A8: D2A24033 0002612F
	v_accvgpr_write_b32 a64, v50                               // 0000000069B0: D3D94040 18000132
	v_accvgpr_write_b32 a65, v51                               // 0000000069B8: D3D94041 18000133
	s_nop 3                                                    // 0000000069C0: BF800003
	v_mfma_f32_16x16x32_fp8_fp8 v[64:67], a[64:65], v[192:193], v[64:67]// 0000000069C4: D3F30040 0D038140
	v_accvgpr_read_b32 v46, a97                                // 0000000069CC: D3D8402E 18000161
	v_cvt_off_f32_i4_e32 v47, v46                              // 0000000069D4: 7E5E1D2E
	v_cvt_off_f32_i4_sdwa v48, v46 dst_sel:DWORD dst_unused:UNUSED_PRESERVE src0_sel:BYTE_2// 0000000069D8: 7E601CF9 0002162E
	v_cvt_pk_fp8_f32 v50, v47, v48                             // 0000000069E0: D2A20032 0002612F
	v_cvt_off_f32_i4_sdwa v47, v46 dst_sel:DWORD dst_unused:UNUSED_PRESERVE src0_sel:BYTE_1// 0000000069E8: 7E5E1CF9 0001162E
	v_cvt_off_f32_i4_sdwa v48, v46 dst_sel:DWORD dst_unused:UNUSED_PRESERVE src0_sel:BYTE_3// 0000000069F0: 7E601CF9 0003162E
	v_cvt_pk_fp8_f32 v51, v47, v48                             // 0000000069F8: D2A20033 0002612F
	v_lshrrev_b32_e32 v49, 4, v46                              // 000000006A00: 20625C84
	v_cvt_off_f32_i4_e32 v47, v49                              // 000000006A04: 7E5E1D31
	v_cvt_off_f32_i4_sdwa v48, v49 dst_sel:DWORD dst_unused:UNUSED_PRESERVE src0_sel:BYTE_2// 000000006A08: 7E601CF9 00021631
	v_cvt_pk_fp8_f32 v50, v47, v48 op_sel:[0,0,1]              // 000000006A10: D2A24032 0002612F
	v_cvt_off_f32_i4_sdwa v47, v49 dst_sel:DWORD dst_unused:UNUSED_PRESERVE src0_sel:BYTE_1// 000000006A18: 7E5E1CF9 00011631
	v_cvt_off_f32_i4_sdwa v48, v49 dst_sel:DWORD dst_unused:UNUSED_PRESERVE src0_sel:BYTE_3// 000000006A20: 7E601CF9 00031631
	v_cvt_pk_fp8_f32 v51, v47, v48 op_sel:[0,0,1]              // 000000006A28: D2A24033 0002612F
	v_accvgpr_write_b32 a66, v50                               // 000000006A30: D3D94042 18000132
	v_accvgpr_write_b32 a67, v51                               // 000000006A38: D3D94043 18000133
	s_nop 3                                                    // 000000006A40: BF800003
	v_mfma_f32_16x16x32_fp8_fp8 v[64:67], a[66:67], v[194:195], v[64:67]// 000000006A44: D3F30040 0D038542
	buffer_load_dwordx4 a[32:35], v32, s[24:27], 0 offen       // 000000006A4C: E05C1000 80862020
	v_accvgpr_read_b32 v46, a98                                // 000000006A54: D3D8402E 18000162
	v_cvt_off_f32_i4_e32 v47, v46                              // 000000006A5C: 7E5E1D2E
	v_cvt_off_f32_i4_sdwa v48, v46 dst_sel:DWORD dst_unused:UNUSED_PRESERVE src0_sel:BYTE_2// 000000006A60: 7E601CF9 0002162E
	v_cvt_pk_fp8_f32 v50, v47, v48                             // 000000006A68: D2A20032 0002612F
	v_cvt_off_f32_i4_sdwa v47, v46 dst_sel:DWORD dst_unused:UNUSED_PRESERVE src0_sel:BYTE_1// 000000006A70: 7E5E1CF9 0001162E
	v_cvt_off_f32_i4_sdwa v48, v46 dst_sel:DWORD dst_unused:UNUSED_PRESERVE src0_sel:BYTE_3// 000000006A78: 7E601CF9 0003162E
	v_cvt_pk_fp8_f32 v51, v47, v48                             // 000000006A80: D2A20033 0002612F
	v_lshrrev_b32_e32 v49, 4, v46                              // 000000006A88: 20625C84
	v_cvt_off_f32_i4_e32 v47, v49                              // 000000006A8C: 7E5E1D31
	v_cvt_off_f32_i4_sdwa v48, v49 dst_sel:DWORD dst_unused:UNUSED_PRESERVE src0_sel:BYTE_2// 000000006A90: 7E601CF9 00021631
	v_cvt_pk_fp8_f32 v50, v47, v48 op_sel:[0,0,1]              // 000000006A98: D2A24032 0002612F
	v_cvt_off_f32_i4_sdwa v47, v49 dst_sel:DWORD dst_unused:UNUSED_PRESERVE src0_sel:BYTE_1// 000000006AA0: 7E5E1CF9 00011631
	v_cvt_off_f32_i4_sdwa v48, v49 dst_sel:DWORD dst_unused:UNUSED_PRESERVE src0_sel:BYTE_3// 000000006AA8: 7E601CF9 00031631
	v_cvt_pk_fp8_f32 v51, v47, v48 op_sel:[0,0,1]              // 000000006AB0: D2A24033 0002612F
	v_accvgpr_write_b32 a68, v50                               // 000000006AB8: D3D94044 18000132
	v_accvgpr_write_b32 a69, v51                               // 000000006AC0: D3D94045 18000133
	s_nop 3                                                    // 000000006AC8: BF800003
	v_mfma_f32_16x16x32_fp8_fp8 v[64:67], a[68:69], v[196:197], v[64:67]// 000000006ACC: D3F30040 0D038944
	v_accvgpr_read_b32 v46, a99                                // 000000006AD4: D3D8402E 18000163
	v_cvt_off_f32_i4_e32 v47, v46                              // 000000006ADC: 7E5E1D2E
	v_cvt_off_f32_i4_sdwa v48, v46 dst_sel:DWORD dst_unused:UNUSED_PRESERVE src0_sel:BYTE_2// 000000006AE0: 7E601CF9 0002162E
	v_cvt_pk_fp8_f32 v50, v47, v48                             // 000000006AE8: D2A20032 0002612F
	v_cvt_off_f32_i4_sdwa v47, v46 dst_sel:DWORD dst_unused:UNUSED_PRESERVE src0_sel:BYTE_1// 000000006AF0: 7E5E1CF9 0001162E
	v_cvt_off_f32_i4_sdwa v48, v46 dst_sel:DWORD dst_unused:UNUSED_PRESERVE src0_sel:BYTE_3// 000000006AF8: 7E601CF9 0003162E
	v_cvt_pk_fp8_f32 v51, v47, v48                             // 000000006B00: D2A20033 0002612F
	v_lshrrev_b32_e32 v49, 4, v46                              // 000000006B08: 20625C84
	v_cvt_off_f32_i4_e32 v47, v49                              // 000000006B0C: 7E5E1D31
	v_cvt_off_f32_i4_sdwa v48, v49 dst_sel:DWORD dst_unused:UNUSED_PRESERVE src0_sel:BYTE_2// 000000006B10: 7E601CF9 00021631
	v_cvt_pk_fp8_f32 v50, v47, v48 op_sel:[0,0,1]              // 000000006B18: D2A24032 0002612F
	v_cvt_off_f32_i4_sdwa v47, v49 dst_sel:DWORD dst_unused:UNUSED_PRESERVE src0_sel:BYTE_1// 000000006B20: 7E5E1CF9 00011631
	v_cvt_off_f32_i4_sdwa v48, v49 dst_sel:DWORD dst_unused:UNUSED_PRESERVE src0_sel:BYTE_3// 000000006B28: 7E601CF9 00031631
	v_cvt_pk_fp8_f32 v51, v47, v48 op_sel:[0,0,1]              // 000000006B30: D2A24033 0002612F
	v_accvgpr_write_b32 a70, v50                               // 000000006B38: D3D94046 18000132
	v_accvgpr_write_b32 a71, v51                               // 000000006B40: D3D94047 18000133
	s_nop 3                                                    // 000000006B48: BF800003
	v_mfma_f32_16x16x32_fp8_fp8 v[64:67], a[70:71], v[198:199], v[64:67]// 000000006B4C: D3F30040 0D038D46
	v_accvgpr_read_b32 v46, a100                               // 000000006B54: D3D8402E 18000164
	v_cvt_off_f32_i4_e32 v47, v46                              // 000000006B5C: 7E5E1D2E
	v_cvt_off_f32_i4_sdwa v48, v46 dst_sel:DWORD dst_unused:UNUSED_PRESERVE src0_sel:BYTE_2// 000000006B60: 7E601CF9 0002162E
	v_cvt_pk_fp8_f32 v50, v47, v48                             // 000000006B68: D2A20032 0002612F
	v_cvt_off_f32_i4_sdwa v47, v46 dst_sel:DWORD dst_unused:UNUSED_PRESERVE src0_sel:BYTE_1// 000000006B70: 7E5E1CF9 0001162E
	v_cvt_off_f32_i4_sdwa v48, v46 dst_sel:DWORD dst_unused:UNUSED_PRESERVE src0_sel:BYTE_3// 000000006B78: 7E601CF9 0003162E
	v_cvt_pk_fp8_f32 v51, v47, v48                             // 000000006B80: D2A20033 0002612F
	v_lshrrev_b32_e32 v49, 4, v46                              // 000000006B88: 20625C84
	v_cvt_off_f32_i4_e32 v47, v49                              // 000000006B8C: 7E5E1D31
	v_cvt_off_f32_i4_sdwa v48, v49 dst_sel:DWORD dst_unused:UNUSED_PRESERVE src0_sel:BYTE_2// 000000006B90: 7E601CF9 00021631
	v_cvt_pk_fp8_f32 v50, v47, v48 op_sel:[0,0,1]              // 000000006B98: D2A24032 0002612F
	v_cvt_off_f32_i4_sdwa v47, v49 dst_sel:DWORD dst_unused:UNUSED_PRESERVE src0_sel:BYTE_1// 000000006BA0: 7E5E1CF9 00011631
	v_cvt_off_f32_i4_sdwa v48, v49 dst_sel:DWORD dst_unused:UNUSED_PRESERVE src0_sel:BYTE_3// 000000006BA8: 7E601CF9 00031631
	v_cvt_pk_fp8_f32 v51, v47, v48 op_sel:[0,0,1]              // 000000006BB0: D2A24033 0002612F
	v_accvgpr_write_b32 a72, v50                               // 000000006BB8: D3D94048 18000132
	v_accvgpr_write_b32 a73, v51                               // 000000006BC0: D3D94049 18000133
	s_nop 3                                                    // 000000006BC8: BF800003
	v_mfma_f32_16x16x32_fp8_fp8 v[64:67], a[72:73], v[200:201], v[64:67]// 000000006BCC: D3F30040 0D039148
	v_accvgpr_read_b32 v46, a101                               // 000000006BD4: D3D8402E 18000165
	v_cvt_off_f32_i4_e32 v47, v46                              // 000000006BDC: 7E5E1D2E
	v_cvt_off_f32_i4_sdwa v48, v46 dst_sel:DWORD dst_unused:UNUSED_PRESERVE src0_sel:BYTE_2// 000000006BE0: 7E601CF9 0002162E
	v_cvt_pk_fp8_f32 v50, v47, v48                             // 000000006BE8: D2A20032 0002612F
	v_cvt_off_f32_i4_sdwa v47, v46 dst_sel:DWORD dst_unused:UNUSED_PRESERVE src0_sel:BYTE_1// 000000006BF0: 7E5E1CF9 0001162E
	v_cvt_off_f32_i4_sdwa v48, v46 dst_sel:DWORD dst_unused:UNUSED_PRESERVE src0_sel:BYTE_3// 000000006BF8: 7E601CF9 0003162E
	v_cvt_pk_fp8_f32 v51, v47, v48                             // 000000006C00: D2A20033 0002612F
	v_lshrrev_b32_e32 v49, 4, v46                              // 000000006C08: 20625C84
	v_cvt_off_f32_i4_e32 v47, v49                              // 000000006C0C: 7E5E1D31
	v_cvt_off_f32_i4_sdwa v48, v49 dst_sel:DWORD dst_unused:UNUSED_PRESERVE src0_sel:BYTE_2// 000000006C10: 7E601CF9 00021631
	v_cvt_pk_fp8_f32 v50, v47, v48 op_sel:[0,0,1]              // 000000006C18: D2A24032 0002612F
	v_cvt_off_f32_i4_sdwa v47, v49 dst_sel:DWORD dst_unused:UNUSED_PRESERVE src0_sel:BYTE_1// 000000006C20: 7E5E1CF9 00011631
	v_cvt_off_f32_i4_sdwa v48, v49 dst_sel:DWORD dst_unused:UNUSED_PRESERVE src0_sel:BYTE_3// 000000006C28: 7E601CF9 00031631
	v_cvt_pk_fp8_f32 v51, v47, v48 op_sel:[0,0,1]              // 000000006C30: D2A24033 0002612F
	v_accvgpr_write_b32 a74, v50                               // 000000006C38: D3D9404A 18000132
	v_accvgpr_write_b32 a75, v51                               // 000000006C40: D3D9404B 18000133
	s_nop 3                                                    // 000000006C48: BF800003
	v_mfma_f32_16x16x32_fp8_fp8 v[64:67], a[74:75], v[202:203], v[64:67]// 000000006C4C: D3F30040 0D03954A
	v_accvgpr_read_b32 v46, a102                               // 000000006C54: D3D8402E 18000166
	v_cvt_off_f32_i4_e32 v47, v46                              // 000000006C5C: 7E5E1D2E
	v_cvt_off_f32_i4_sdwa v48, v46 dst_sel:DWORD dst_unused:UNUSED_PRESERVE src0_sel:BYTE_2// 000000006C60: 7E601CF9 0002162E
	v_cvt_pk_fp8_f32 v50, v47, v48                             // 000000006C68: D2A20032 0002612F
	v_cvt_off_f32_i4_sdwa v47, v46 dst_sel:DWORD dst_unused:UNUSED_PRESERVE src0_sel:BYTE_1// 000000006C70: 7E5E1CF9 0001162E
	v_cvt_off_f32_i4_sdwa v48, v46 dst_sel:DWORD dst_unused:UNUSED_PRESERVE src0_sel:BYTE_3// 000000006C78: 7E601CF9 0003162E
	v_cvt_pk_fp8_f32 v51, v47, v48                             // 000000006C80: D2A20033 0002612F
	v_lshrrev_b32_e32 v49, 4, v46                              // 000000006C88: 20625C84
	v_cvt_off_f32_i4_e32 v47, v49                              // 000000006C8C: 7E5E1D31
	v_cvt_off_f32_i4_sdwa v48, v49 dst_sel:DWORD dst_unused:UNUSED_PRESERVE src0_sel:BYTE_2// 000000006C90: 7E601CF9 00021631
	v_cvt_pk_fp8_f32 v50, v47, v48 op_sel:[0,0,1]              // 000000006C98: D2A24032 0002612F
	v_cvt_off_f32_i4_sdwa v47, v49 dst_sel:DWORD dst_unused:UNUSED_PRESERVE src0_sel:BYTE_1// 000000006CA0: 7E5E1CF9 00011631
	v_cvt_off_f32_i4_sdwa v48, v49 dst_sel:DWORD dst_unused:UNUSED_PRESERVE src0_sel:BYTE_3// 000000006CA8: 7E601CF9 00031631
	v_cvt_pk_fp8_f32 v51, v47, v48 op_sel:[0,0,1]              // 000000006CB0: D2A24033 0002612F
	v_accvgpr_write_b32 a76, v50                               // 000000006CB8: D3D9404C 18000132
	v_accvgpr_write_b32 a77, v51                               // 000000006CC0: D3D9404D 18000133
	s_nop 3                                                    // 000000006CC8: BF800003
	v_mfma_f32_16x16x32_fp8_fp8 v[64:67], a[76:77], v[204:205], v[64:67]// 000000006CCC: D3F30040 0D03994C
	v_accvgpr_read_b32 v46, a103                               // 000000006CD4: D3D8402E 18000167
	v_cvt_off_f32_i4_e32 v47, v46                              // 000000006CDC: 7E5E1D2E
	v_cvt_off_f32_i4_sdwa v48, v46 dst_sel:DWORD dst_unused:UNUSED_PRESERVE src0_sel:BYTE_2// 000000006CE0: 7E601CF9 0002162E
	v_cvt_pk_fp8_f32 v50, v47, v48                             // 000000006CE8: D2A20032 0002612F
	v_cvt_off_f32_i4_sdwa v47, v46 dst_sel:DWORD dst_unused:UNUSED_PRESERVE src0_sel:BYTE_1// 000000006CF0: 7E5E1CF9 0001162E
	v_cvt_off_f32_i4_sdwa v48, v46 dst_sel:DWORD dst_unused:UNUSED_PRESERVE src0_sel:BYTE_3// 000000006CF8: 7E601CF9 0003162E
	v_cvt_pk_fp8_f32 v51, v47, v48                             // 000000006D00: D2A20033 0002612F
	v_lshrrev_b32_e32 v49, 4, v46                              // 000000006D08: 20625C84
	v_cvt_off_f32_i4_e32 v47, v49                              // 000000006D0C: 7E5E1D31
	v_cvt_off_f32_i4_sdwa v48, v49 dst_sel:DWORD dst_unused:UNUSED_PRESERVE src0_sel:BYTE_2// 000000006D10: 7E601CF9 00021631
	v_cvt_pk_fp8_f32 v50, v47, v48 op_sel:[0,0,1]              // 000000006D18: D2A24032 0002612F
	v_cvt_off_f32_i4_sdwa v47, v49 dst_sel:DWORD dst_unused:UNUSED_PRESERVE src0_sel:BYTE_1// 000000006D20: 7E5E1CF9 00011631
	v_cvt_off_f32_i4_sdwa v48, v49 dst_sel:DWORD dst_unused:UNUSED_PRESERVE src0_sel:BYTE_3// 000000006D28: 7E601CF9 00031631
	v_cvt_pk_fp8_f32 v51, v47, v48 op_sel:[0,0,1]              // 000000006D30: D2A24033 0002612F
	v_accvgpr_write_b32 a78, v50                               // 000000006D38: D3D9404E 18000132
	v_accvgpr_write_b32 a79, v51                               // 000000006D40: D3D9404F 18000133
	s_nop 3                                                    // 000000006D48: BF800003
	v_mfma_f32_16x16x32_fp8_fp8 v[64:67], a[78:79], v[206:207], v[64:67]// 000000006D4C: D3F30040 0D039D4E
	v_mfma_f32_16x16x32_fp8_fp8 v[68:71], a[64:65], v[208:209], v[68:71]// 000000006D54: D3F30044 0D13A140
	v_mfma_f32_16x16x32_fp8_fp8 v[68:71], a[66:67], v[210:211], v[68:71]// 000000006D5C: D3F30044 0D13A542
	buffer_load_dwordx4 a[36:39], v32, s[24:27], 0 offen offset:1024// 000000006D64: E05C1400 80862420
	v_mfma_f32_16x16x32_fp8_fp8 v[68:71], a[68:69], v[212:213], v[68:71]// 000000006D6C: D3F30044 0D13A944
	v_mfma_f32_16x16x32_fp8_fp8 v[68:71], a[70:71], v[214:215], v[68:71]// 000000006D74: D3F30044 0D13AD46
	v_mfma_f32_16x16x32_fp8_fp8 v[68:71], a[72:73], v[216:217], v[68:71]// 000000006D7C: D3F30044 0D13B148
	v_mfma_f32_16x16x32_fp8_fp8 v[68:71], a[74:75], v[218:219], v[68:71]// 000000006D84: D3F30044 0D13B54A
	v_mfma_f32_16x16x32_fp8_fp8 v[68:71], a[76:77], v[220:221], v[68:71]// 000000006D8C: D3F30044 0D13B94C
	v_mfma_f32_16x16x32_fp8_fp8 v[68:71], a[78:79], v[222:223], v[68:71]// 000000006D94: D3F30044 0D13BD4E
	v_accvgpr_read_b32 v46, a104                               // 000000006D9C: D3D8402E 18000168
	v_cvt_off_f32_i4_e32 v47, v46                              // 000000006DA4: 7E5E1D2E
	v_cvt_off_f32_i4_sdwa v48, v46 dst_sel:DWORD dst_unused:UNUSED_PRESERVE src0_sel:BYTE_2// 000000006DA8: 7E601CF9 0002162E
	v_cvt_pk_fp8_f32 v50, v47, v48                             // 000000006DB0: D2A20032 0002612F
	v_cvt_off_f32_i4_sdwa v47, v46 dst_sel:DWORD dst_unused:UNUSED_PRESERVE src0_sel:BYTE_1// 000000006DB8: 7E5E1CF9 0001162E
	v_cvt_off_f32_i4_sdwa v48, v46 dst_sel:DWORD dst_unused:UNUSED_PRESERVE src0_sel:BYTE_3// 000000006DC0: 7E601CF9 0003162E
	v_cvt_pk_fp8_f32 v51, v47, v48                             // 000000006DC8: D2A20033 0002612F
	v_lshrrev_b32_e32 v49, 4, v46                              // 000000006DD0: 20625C84
	v_cvt_off_f32_i4_e32 v47, v49                              // 000000006DD4: 7E5E1D31
	v_cvt_off_f32_i4_sdwa v48, v49 dst_sel:DWORD dst_unused:UNUSED_PRESERVE src0_sel:BYTE_2// 000000006DD8: 7E601CF9 00021631
	v_cvt_pk_fp8_f32 v50, v47, v48 op_sel:[0,0,1]              // 000000006DE0: D2A24032 0002612F
	v_cvt_off_f32_i4_sdwa v47, v49 dst_sel:DWORD dst_unused:UNUSED_PRESERVE src0_sel:BYTE_1// 000000006DE8: 7E5E1CF9 00011631
	v_cvt_off_f32_i4_sdwa v48, v49 dst_sel:DWORD dst_unused:UNUSED_PRESERVE src0_sel:BYTE_3// 000000006DF0: 7E601CF9 00031631
	v_cvt_pk_fp8_f32 v51, v47, v48 op_sel:[0,0,1]              // 000000006DF8: D2A24033 0002612F
	v_accvgpr_write_b32 a80, v50                               // 000000006E00: D3D94050 18000132
	v_accvgpr_write_b32 a81, v51                               // 000000006E08: D3D94051 18000133
	s_nop 3                                                    // 000000006E10: BF800003
	v_mfma_f32_16x16x32_fp8_fp8 v[72:75], a[80:81], v[192:193], v[72:75]// 000000006E14: D3F30048 0D238150
	v_accvgpr_read_b32 v46, a105                               // 000000006E1C: D3D8402E 18000169
	v_cvt_off_f32_i4_e32 v47, v46                              // 000000006E24: 7E5E1D2E
	v_cvt_off_f32_i4_sdwa v48, v46 dst_sel:DWORD dst_unused:UNUSED_PRESERVE src0_sel:BYTE_2// 000000006E28: 7E601CF9 0002162E
	v_cvt_pk_fp8_f32 v50, v47, v48                             // 000000006E30: D2A20032 0002612F
	v_cvt_off_f32_i4_sdwa v47, v46 dst_sel:DWORD dst_unused:UNUSED_PRESERVE src0_sel:BYTE_1// 000000006E38: 7E5E1CF9 0001162E
	v_cvt_off_f32_i4_sdwa v48, v46 dst_sel:DWORD dst_unused:UNUSED_PRESERVE src0_sel:BYTE_3// 000000006E40: 7E601CF9 0003162E
	v_cvt_pk_fp8_f32 v51, v47, v48                             // 000000006E48: D2A20033 0002612F
	v_lshrrev_b32_e32 v49, 4, v46                              // 000000006E50: 20625C84
	v_cvt_off_f32_i4_e32 v47, v49                              // 000000006E54: 7E5E1D31
	v_cvt_off_f32_i4_sdwa v48, v49 dst_sel:DWORD dst_unused:UNUSED_PRESERVE src0_sel:BYTE_2// 000000006E58: 7E601CF9 00021631
	v_cvt_pk_fp8_f32 v50, v47, v48 op_sel:[0,0,1]              // 000000006E60: D2A24032 0002612F
	v_cvt_off_f32_i4_sdwa v47, v49 dst_sel:DWORD dst_unused:UNUSED_PRESERVE src0_sel:BYTE_1// 000000006E68: 7E5E1CF9 00011631
	v_cvt_off_f32_i4_sdwa v48, v49 dst_sel:DWORD dst_unused:UNUSED_PRESERVE src0_sel:BYTE_3// 000000006E70: 7E601CF9 00031631
	v_cvt_pk_fp8_f32 v51, v47, v48 op_sel:[0,0,1]              // 000000006E78: D2A24033 0002612F
	v_accvgpr_write_b32 a82, v50                               // 000000006E80: D3D94052 18000132
	v_accvgpr_write_b32 a83, v51                               // 000000006E88: D3D94053 18000133
	s_nop 3                                                    // 000000006E90: BF800003
	v_mfma_f32_16x16x32_fp8_fp8 v[72:75], a[82:83], v[194:195], v[72:75]// 000000006E94: D3F30048 0D238552
	buffer_load_dwordx4 a[40:43], v33, s[24:27], 0 offen       // 000000006E9C: E05C1000 80862821
	v_accvgpr_read_b32 v46, a106                               // 000000006EA4: D3D8402E 1800016A
	v_cvt_off_f32_i4_e32 v47, v46                              // 000000006EAC: 7E5E1D2E
	v_cvt_off_f32_i4_sdwa v48, v46 dst_sel:DWORD dst_unused:UNUSED_PRESERVE src0_sel:BYTE_2// 000000006EB0: 7E601CF9 0002162E
	v_cvt_pk_fp8_f32 v50, v47, v48                             // 000000006EB8: D2A20032 0002612F
	v_cvt_off_f32_i4_sdwa v47, v46 dst_sel:DWORD dst_unused:UNUSED_PRESERVE src0_sel:BYTE_1// 000000006EC0: 7E5E1CF9 0001162E
	v_cvt_off_f32_i4_sdwa v48, v46 dst_sel:DWORD dst_unused:UNUSED_PRESERVE src0_sel:BYTE_3// 000000006EC8: 7E601CF9 0003162E
	v_cvt_pk_fp8_f32 v51, v47, v48                             // 000000006ED0: D2A20033 0002612F
	v_lshrrev_b32_e32 v49, 4, v46                              // 000000006ED8: 20625C84
	v_cvt_off_f32_i4_e32 v47, v49                              // 000000006EDC: 7E5E1D31
	v_cvt_off_f32_i4_sdwa v48, v49 dst_sel:DWORD dst_unused:UNUSED_PRESERVE src0_sel:BYTE_2// 000000006EE0: 7E601CF9 00021631
	v_cvt_pk_fp8_f32 v50, v47, v48 op_sel:[0,0,1]              // 000000006EE8: D2A24032 0002612F
	v_cvt_off_f32_i4_sdwa v47, v49 dst_sel:DWORD dst_unused:UNUSED_PRESERVE src0_sel:BYTE_1// 000000006EF0: 7E5E1CF9 00011631
	v_cvt_off_f32_i4_sdwa v48, v49 dst_sel:DWORD dst_unused:UNUSED_PRESERVE src0_sel:BYTE_3// 000000006EF8: 7E601CF9 00031631
	v_cvt_pk_fp8_f32 v51, v47, v48 op_sel:[0,0,1]              // 000000006F00: D2A24033 0002612F
	v_accvgpr_write_b32 a84, v50                               // 000000006F08: D3D94054 18000132
	v_accvgpr_write_b32 a85, v51                               // 000000006F10: D3D94055 18000133
	s_nop 3                                                    // 000000006F18: BF800003
	v_mfma_f32_16x16x32_fp8_fp8 v[72:75], a[84:85], v[196:197], v[72:75]// 000000006F1C: D3F30048 0D238954
	v_accvgpr_read_b32 v46, a107                               // 000000006F24: D3D8402E 1800016B
	v_cvt_off_f32_i4_e32 v47, v46                              // 000000006F2C: 7E5E1D2E
	v_cvt_off_f32_i4_sdwa v48, v46 dst_sel:DWORD dst_unused:UNUSED_PRESERVE src0_sel:BYTE_2// 000000006F30: 7E601CF9 0002162E
	v_cvt_pk_fp8_f32 v50, v47, v48                             // 000000006F38: D2A20032 0002612F
	v_cvt_off_f32_i4_sdwa v47, v46 dst_sel:DWORD dst_unused:UNUSED_PRESERVE src0_sel:BYTE_1// 000000006F40: 7E5E1CF9 0001162E
	v_cvt_off_f32_i4_sdwa v48, v46 dst_sel:DWORD dst_unused:UNUSED_PRESERVE src0_sel:BYTE_3// 000000006F48: 7E601CF9 0003162E
	v_cvt_pk_fp8_f32 v51, v47, v48                             // 000000006F50: D2A20033 0002612F
	v_lshrrev_b32_e32 v49, 4, v46                              // 000000006F58: 20625C84
	v_cvt_off_f32_i4_e32 v47, v49                              // 000000006F5C: 7E5E1D31
	v_cvt_off_f32_i4_sdwa v48, v49 dst_sel:DWORD dst_unused:UNUSED_PRESERVE src0_sel:BYTE_2// 000000006F60: 7E601CF9 00021631
	v_cvt_pk_fp8_f32 v50, v47, v48 op_sel:[0,0,1]              // 000000006F68: D2A24032 0002612F
	v_cvt_off_f32_i4_sdwa v47, v49 dst_sel:DWORD dst_unused:UNUSED_PRESERVE src0_sel:BYTE_1// 000000006F70: 7E5E1CF9 00011631
	v_cvt_off_f32_i4_sdwa v48, v49 dst_sel:DWORD dst_unused:UNUSED_PRESERVE src0_sel:BYTE_3// 000000006F78: 7E601CF9 00031631
	v_cvt_pk_fp8_f32 v51, v47, v48 op_sel:[0,0,1]              // 000000006F80: D2A24033 0002612F
	v_accvgpr_write_b32 a86, v50                               // 000000006F88: D3D94056 18000132
	v_accvgpr_write_b32 a87, v51                               // 000000006F90: D3D94057 18000133
	s_nop 3                                                    // 000000006F98: BF800003
	v_mfma_f32_16x16x32_fp8_fp8 v[72:75], a[86:87], v[198:199], v[72:75]// 000000006F9C: D3F30048 0D238D56
	v_accvgpr_read_b32 v46, a108                               // 000000006FA4: D3D8402E 1800016C
	v_cvt_off_f32_i4_e32 v47, v46                              // 000000006FAC: 7E5E1D2E
	v_cvt_off_f32_i4_sdwa v48, v46 dst_sel:DWORD dst_unused:UNUSED_PRESERVE src0_sel:BYTE_2// 000000006FB0: 7E601CF9 0002162E
	v_cvt_pk_fp8_f32 v50, v47, v48                             // 000000006FB8: D2A20032 0002612F
	v_cvt_off_f32_i4_sdwa v47, v46 dst_sel:DWORD dst_unused:UNUSED_PRESERVE src0_sel:BYTE_1// 000000006FC0: 7E5E1CF9 0001162E
	v_cvt_off_f32_i4_sdwa v48, v46 dst_sel:DWORD dst_unused:UNUSED_PRESERVE src0_sel:BYTE_3// 000000006FC8: 7E601CF9 0003162E
	v_cvt_pk_fp8_f32 v51, v47, v48                             // 000000006FD0: D2A20033 0002612F
	v_lshrrev_b32_e32 v49, 4, v46                              // 000000006FD8: 20625C84
	v_cvt_off_f32_i4_e32 v47, v49                              // 000000006FDC: 7E5E1D31
	v_cvt_off_f32_i4_sdwa v48, v49 dst_sel:DWORD dst_unused:UNUSED_PRESERVE src0_sel:BYTE_2// 000000006FE0: 7E601CF9 00021631
	v_cvt_pk_fp8_f32 v50, v47, v48 op_sel:[0,0,1]              // 000000006FE8: D2A24032 0002612F
	v_cvt_off_f32_i4_sdwa v47, v49 dst_sel:DWORD dst_unused:UNUSED_PRESERVE src0_sel:BYTE_1// 000000006FF0: 7E5E1CF9 00011631
	v_cvt_off_f32_i4_sdwa v48, v49 dst_sel:DWORD dst_unused:UNUSED_PRESERVE src0_sel:BYTE_3// 000000006FF8: 7E601CF9 00031631
	v_cvt_pk_fp8_f32 v51, v47, v48 op_sel:[0,0,1]              // 000000007000: D2A24033 0002612F
	v_accvgpr_write_b32 a88, v50                               // 000000007008: D3D94058 18000132
	v_accvgpr_write_b32 a89, v51                               // 000000007010: D3D94059 18000133
	s_nop 3                                                    // 000000007018: BF800003
	v_mfma_f32_16x16x32_fp8_fp8 v[72:75], a[88:89], v[200:201], v[72:75]// 00000000701C: D3F30048 0D239158
	v_accvgpr_read_b32 v46, a109                               // 000000007024: D3D8402E 1800016D
	v_cvt_off_f32_i4_e32 v47, v46                              // 00000000702C: 7E5E1D2E
	v_cvt_off_f32_i4_sdwa v48, v46 dst_sel:DWORD dst_unused:UNUSED_PRESERVE src0_sel:BYTE_2// 000000007030: 7E601CF9 0002162E
	v_cvt_pk_fp8_f32 v50, v47, v48                             // 000000007038: D2A20032 0002612F
	v_cvt_off_f32_i4_sdwa v47, v46 dst_sel:DWORD dst_unused:UNUSED_PRESERVE src0_sel:BYTE_1// 000000007040: 7E5E1CF9 0001162E
	v_cvt_off_f32_i4_sdwa v48, v46 dst_sel:DWORD dst_unused:UNUSED_PRESERVE src0_sel:BYTE_3// 000000007048: 7E601CF9 0003162E
	v_cvt_pk_fp8_f32 v51, v47, v48                             // 000000007050: D2A20033 0002612F
	v_lshrrev_b32_e32 v49, 4, v46                              // 000000007058: 20625C84
	v_cvt_off_f32_i4_e32 v47, v49                              // 00000000705C: 7E5E1D31
	v_cvt_off_f32_i4_sdwa v48, v49 dst_sel:DWORD dst_unused:UNUSED_PRESERVE src0_sel:BYTE_2// 000000007060: 7E601CF9 00021631
	v_cvt_pk_fp8_f32 v50, v47, v48 op_sel:[0,0,1]              // 000000007068: D2A24032 0002612F
	v_cvt_off_f32_i4_sdwa v47, v49 dst_sel:DWORD dst_unused:UNUSED_PRESERVE src0_sel:BYTE_1// 000000007070: 7E5E1CF9 00011631
	v_cvt_off_f32_i4_sdwa v48, v49 dst_sel:DWORD dst_unused:UNUSED_PRESERVE src0_sel:BYTE_3// 000000007078: 7E601CF9 00031631
	v_cvt_pk_fp8_f32 v51, v47, v48 op_sel:[0,0,1]              // 000000007080: D2A24033 0002612F
	v_accvgpr_write_b32 a90, v50                               // 000000007088: D3D9405A 18000132
	v_accvgpr_write_b32 a91, v51                               // 000000007090: D3D9405B 18000133
	s_nop 3                                                    // 000000007098: BF800003
	v_mfma_f32_16x16x32_fp8_fp8 v[72:75], a[90:91], v[202:203], v[72:75]// 00000000709C: D3F30048 0D23955A
	v_accvgpr_read_b32 v46, a110                               // 0000000070A4: D3D8402E 1800016E
	v_cvt_off_f32_i4_e32 v47, v46                              // 0000000070AC: 7E5E1D2E
	v_cvt_off_f32_i4_sdwa v48, v46 dst_sel:DWORD dst_unused:UNUSED_PRESERVE src0_sel:BYTE_2// 0000000070B0: 7E601CF9 0002162E
	v_cvt_pk_fp8_f32 v50, v47, v48                             // 0000000070B8: D2A20032 0002612F
	v_cvt_off_f32_i4_sdwa v47, v46 dst_sel:DWORD dst_unused:UNUSED_PRESERVE src0_sel:BYTE_1// 0000000070C0: 7E5E1CF9 0001162E
	v_cvt_off_f32_i4_sdwa v48, v46 dst_sel:DWORD dst_unused:UNUSED_PRESERVE src0_sel:BYTE_3// 0000000070C8: 7E601CF9 0003162E
	v_cvt_pk_fp8_f32 v51, v47, v48                             // 0000000070D0: D2A20033 0002612F
	v_lshrrev_b32_e32 v49, 4, v46                              // 0000000070D8: 20625C84
	v_cvt_off_f32_i4_e32 v47, v49                              // 0000000070DC: 7E5E1D31
	v_cvt_off_f32_i4_sdwa v48, v49 dst_sel:DWORD dst_unused:UNUSED_PRESERVE src0_sel:BYTE_2// 0000000070E0: 7E601CF9 00021631
	v_cvt_pk_fp8_f32 v50, v47, v48 op_sel:[0,0,1]              // 0000000070E8: D2A24032 0002612F
	v_cvt_off_f32_i4_sdwa v47, v49 dst_sel:DWORD dst_unused:UNUSED_PRESERVE src0_sel:BYTE_1// 0000000070F0: 7E5E1CF9 00011631
	v_cvt_off_f32_i4_sdwa v48, v49 dst_sel:DWORD dst_unused:UNUSED_PRESERVE src0_sel:BYTE_3// 0000000070F8: 7E601CF9 00031631
	v_cvt_pk_fp8_f32 v51, v47, v48 op_sel:[0,0,1]              // 000000007100: D2A24033 0002612F
	v_accvgpr_write_b32 a92, v50                               // 000000007108: D3D9405C 18000132
	v_accvgpr_write_b32 a93, v51                               // 000000007110: D3D9405D 18000133
	s_nop 3                                                    // 000000007118: BF800003
	v_mfma_f32_16x16x32_fp8_fp8 v[72:75], a[92:93], v[204:205], v[72:75]// 00000000711C: D3F30048 0D23995C
	v_accvgpr_read_b32 v46, a111                               // 000000007124: D3D8402E 1800016F
	v_cvt_off_f32_i4_e32 v47, v46                              // 00000000712C: 7E5E1D2E
	v_cvt_off_f32_i4_sdwa v48, v46 dst_sel:DWORD dst_unused:UNUSED_PRESERVE src0_sel:BYTE_2// 000000007130: 7E601CF9 0002162E
	v_cvt_pk_fp8_f32 v50, v47, v48                             // 000000007138: D2A20032 0002612F
	v_cvt_off_f32_i4_sdwa v47, v46 dst_sel:DWORD dst_unused:UNUSED_PRESERVE src0_sel:BYTE_1// 000000007140: 7E5E1CF9 0001162E
	v_cvt_off_f32_i4_sdwa v48, v46 dst_sel:DWORD dst_unused:UNUSED_PRESERVE src0_sel:BYTE_3// 000000007148: 7E601CF9 0003162E
	v_cvt_pk_fp8_f32 v51, v47, v48                             // 000000007150: D2A20033 0002612F
	v_lshrrev_b32_e32 v49, 4, v46                              // 000000007158: 20625C84
	v_cvt_off_f32_i4_e32 v47, v49                              // 00000000715C: 7E5E1D31
	v_cvt_off_f32_i4_sdwa v48, v49 dst_sel:DWORD dst_unused:UNUSED_PRESERVE src0_sel:BYTE_2// 000000007160: 7E601CF9 00021631
	v_cvt_pk_fp8_f32 v50, v47, v48 op_sel:[0,0,1]              // 000000007168: D2A24032 0002612F
	v_cvt_off_f32_i4_sdwa v47, v49 dst_sel:DWORD dst_unused:UNUSED_PRESERVE src0_sel:BYTE_1// 000000007170: 7E5E1CF9 00011631
	v_cvt_off_f32_i4_sdwa v48, v49 dst_sel:DWORD dst_unused:UNUSED_PRESERVE src0_sel:BYTE_3// 000000007178: 7E601CF9 00031631
	v_cvt_pk_fp8_f32 v51, v47, v48 op_sel:[0,0,1]              // 000000007180: D2A24033 0002612F
	v_accvgpr_write_b32 a94, v50                               // 000000007188: D3D9405E 18000132
	v_accvgpr_write_b32 a95, v51                               // 000000007190: D3D9405F 18000133
	s_nop 3                                                    // 000000007198: BF800003
	v_mfma_f32_16x16x32_fp8_fp8 v[72:75], a[94:95], v[206:207], v[72:75]// 00000000719C: D3F30048 0D239D5E
	v_mfma_f32_16x16x32_fp8_fp8 v[76:79], a[80:81], v[208:209], v[76:79]// 0000000071A4: D3F3004C 0D33A150
	v_mfma_f32_16x16x32_fp8_fp8 v[76:79], a[82:83], v[210:211], v[76:79]// 0000000071AC: D3F3004C 0D33A552
	buffer_load_dwordx4 a[44:47], v33, s[24:27], 0 offen offset:1024// 0000000071B4: E05C1400 80862C21
	v_mfma_f32_16x16x32_fp8_fp8 v[76:79], a[84:85], v[212:213], v[76:79]// 0000000071BC: D3F3004C 0D33A954
	v_mfma_f32_16x16x32_fp8_fp8 v[76:79], a[86:87], v[214:215], v[76:79]// 0000000071C4: D3F3004C 0D33AD56
	v_mfma_f32_16x16x32_fp8_fp8 v[76:79], a[88:89], v[216:217], v[76:79]// 0000000071CC: D3F3004C 0D33B158
	v_mfma_f32_16x16x32_fp8_fp8 v[76:79], a[90:91], v[218:219], v[76:79]// 0000000071D4: D3F3004C 0D33B55A
	v_mfma_f32_16x16x32_fp8_fp8 v[76:79], a[92:93], v[220:221], v[76:79]// 0000000071DC: D3F3004C 0D33B95C
	v_mfma_f32_16x16x32_fp8_fp8 v[76:79], a[94:95], v[222:223], v[76:79]// 0000000071E4: D3F3004C 0D33BD5E
	s_waitcnt vmcnt(6)                                         // 0000000071EC: BF8C0F76
	v_accvgpr_read_b32 v46, a112                               // 0000000071F0: D3D8402E 18000170
	v_cvt_off_f32_i4_e32 v47, v46                              // 0000000071F8: 7E5E1D2E
	v_cvt_off_f32_i4_sdwa v48, v46 dst_sel:DWORD dst_unused:UNUSED_PRESERVE src0_sel:BYTE_2// 0000000071FC: 7E601CF9 0002162E
	v_cvt_pk_fp8_f32 v50, v47, v48                             // 000000007204: D2A20032 0002612F
	v_cvt_off_f32_i4_sdwa v47, v46 dst_sel:DWORD dst_unused:UNUSED_PRESERVE src0_sel:BYTE_1// 00000000720C: 7E5E1CF9 0001162E
	v_cvt_off_f32_i4_sdwa v48, v46 dst_sel:DWORD dst_unused:UNUSED_PRESERVE src0_sel:BYTE_3// 000000007214: 7E601CF9 0003162E
	v_cvt_pk_fp8_f32 v51, v47, v48                             // 00000000721C: D2A20033 0002612F
	v_lshrrev_b32_e32 v49, 4, v46                              // 000000007224: 20625C84
	v_cvt_off_f32_i4_e32 v47, v49                              // 000000007228: 7E5E1D31
	v_cvt_off_f32_i4_sdwa v48, v49 dst_sel:DWORD dst_unused:UNUSED_PRESERVE src0_sel:BYTE_2// 00000000722C: 7E601CF9 00021631
	v_cvt_pk_fp8_f32 v50, v47, v48 op_sel:[0,0,1]              // 000000007234: D2A24032 0002612F
	v_cvt_off_f32_i4_sdwa v47, v49 dst_sel:DWORD dst_unused:UNUSED_PRESERVE src0_sel:BYTE_1// 00000000723C: 7E5E1CF9 00011631
	v_cvt_off_f32_i4_sdwa v48, v49 dst_sel:DWORD dst_unused:UNUSED_PRESERVE src0_sel:BYTE_3// 000000007244: 7E601CF9 00031631
	v_cvt_pk_fp8_f32 v51, v47, v48 op_sel:[0,0,1]              // 00000000724C: D2A24033 0002612F
	v_accvgpr_write_b32 a96, v50                               // 000000007254: D3D94060 18000132
	v_accvgpr_write_b32 a97, v51                               // 00000000725C: D3D94061 18000133
	s_nop 3                                                    // 000000007264: BF800003
	v_mfma_f32_16x16x32_fp8_fp8 v[80:83], a[96:97], v[192:193], v[80:83]// 000000007268: D3F30050 0D438160
	v_accvgpr_read_b32 v46, a113                               // 000000007270: D3D8402E 18000171
	v_cvt_off_f32_i4_e32 v47, v46                              // 000000007278: 7E5E1D2E
	v_cvt_off_f32_i4_sdwa v48, v46 dst_sel:DWORD dst_unused:UNUSED_PRESERVE src0_sel:BYTE_2// 00000000727C: 7E601CF9 0002162E
	v_cvt_pk_fp8_f32 v50, v47, v48                             // 000000007284: D2A20032 0002612F
	v_cvt_off_f32_i4_sdwa v47, v46 dst_sel:DWORD dst_unused:UNUSED_PRESERVE src0_sel:BYTE_1// 00000000728C: 7E5E1CF9 0001162E
	v_cvt_off_f32_i4_sdwa v48, v46 dst_sel:DWORD dst_unused:UNUSED_PRESERVE src0_sel:BYTE_3// 000000007294: 7E601CF9 0003162E
	v_cvt_pk_fp8_f32 v51, v47, v48                             // 00000000729C: D2A20033 0002612F
	v_lshrrev_b32_e32 v49, 4, v46                              // 0000000072A4: 20625C84
	v_cvt_off_f32_i4_e32 v47, v49                              // 0000000072A8: 7E5E1D31
	v_cvt_off_f32_i4_sdwa v48, v49 dst_sel:DWORD dst_unused:UNUSED_PRESERVE src0_sel:BYTE_2// 0000000072AC: 7E601CF9 00021631
	v_cvt_pk_fp8_f32 v50, v47, v48 op_sel:[0,0,1]              // 0000000072B4: D2A24032 0002612F
	v_cvt_off_f32_i4_sdwa v47, v49 dst_sel:DWORD dst_unused:UNUSED_PRESERVE src0_sel:BYTE_1// 0000000072BC: 7E5E1CF9 00011631
	v_cvt_off_f32_i4_sdwa v48, v49 dst_sel:DWORD dst_unused:UNUSED_PRESERVE src0_sel:BYTE_3// 0000000072C4: 7E601CF9 00031631
	v_cvt_pk_fp8_f32 v51, v47, v48 op_sel:[0,0,1]              // 0000000072CC: D2A24033 0002612F
	v_accvgpr_write_b32 a98, v50                               // 0000000072D4: D3D94062 18000132
	v_accvgpr_write_b32 a99, v51                               // 0000000072DC: D3D94063 18000133
	s_nop 3                                                    // 0000000072E4: BF800003
	v_mfma_f32_16x16x32_fp8_fp8 v[80:83], a[98:99], v[194:195], v[80:83]// 0000000072E8: D3F30050 0D438562
	buffer_load_dwordx4 a[48:51], v34, s[24:27], 0 offen       // 0000000072F0: E05C1000 80863022
	v_accvgpr_read_b32 v46, a114                               // 0000000072F8: D3D8402E 18000172
	v_cvt_off_f32_i4_e32 v47, v46                              // 000000007300: 7E5E1D2E
	v_cvt_off_f32_i4_sdwa v48, v46 dst_sel:DWORD dst_unused:UNUSED_PRESERVE src0_sel:BYTE_2// 000000007304: 7E601CF9 0002162E
	v_cvt_pk_fp8_f32 v50, v47, v48                             // 00000000730C: D2A20032 0002612F
	v_cvt_off_f32_i4_sdwa v47, v46 dst_sel:DWORD dst_unused:UNUSED_PRESERVE src0_sel:BYTE_1// 000000007314: 7E5E1CF9 0001162E
	v_cvt_off_f32_i4_sdwa v48, v46 dst_sel:DWORD dst_unused:UNUSED_PRESERVE src0_sel:BYTE_3// 00000000731C: 7E601CF9 0003162E
	v_cvt_pk_fp8_f32 v51, v47, v48                             // 000000007324: D2A20033 0002612F
	v_lshrrev_b32_e32 v49, 4, v46                              // 00000000732C: 20625C84
	v_cvt_off_f32_i4_e32 v47, v49                              // 000000007330: 7E5E1D31
	v_cvt_off_f32_i4_sdwa v48, v49 dst_sel:DWORD dst_unused:UNUSED_PRESERVE src0_sel:BYTE_2// 000000007334: 7E601CF9 00021631
	v_cvt_pk_fp8_f32 v50, v47, v48 op_sel:[0,0,1]              // 00000000733C: D2A24032 0002612F
	v_cvt_off_f32_i4_sdwa v47, v49 dst_sel:DWORD dst_unused:UNUSED_PRESERVE src0_sel:BYTE_1// 000000007344: 7E5E1CF9 00011631
	v_cvt_off_f32_i4_sdwa v48, v49 dst_sel:DWORD dst_unused:UNUSED_PRESERVE src0_sel:BYTE_3// 00000000734C: 7E601CF9 00031631
	v_cvt_pk_fp8_f32 v51, v47, v48 op_sel:[0,0,1]              // 000000007354: D2A24033 0002612F
	v_accvgpr_write_b32 a100, v50                              // 00000000735C: D3D94064 18000132
	v_accvgpr_write_b32 a101, v51                              // 000000007364: D3D94065 18000133
	s_nop 3                                                    // 00000000736C: BF800003
	v_mfma_f32_16x16x32_fp8_fp8 v[80:83], a[100:101], v[196:197], v[80:83]// 000000007370: D3F30050 0D438964
	v_accvgpr_read_b32 v46, a115                               // 000000007378: D3D8402E 18000173
	v_cvt_off_f32_i4_e32 v47, v46                              // 000000007380: 7E5E1D2E
	v_cvt_off_f32_i4_sdwa v48, v46 dst_sel:DWORD dst_unused:UNUSED_PRESERVE src0_sel:BYTE_2// 000000007384: 7E601CF9 0002162E
	v_cvt_pk_fp8_f32 v50, v47, v48                             // 00000000738C: D2A20032 0002612F
	v_cvt_off_f32_i4_sdwa v47, v46 dst_sel:DWORD dst_unused:UNUSED_PRESERVE src0_sel:BYTE_1// 000000007394: 7E5E1CF9 0001162E
	v_cvt_off_f32_i4_sdwa v48, v46 dst_sel:DWORD dst_unused:UNUSED_PRESERVE src0_sel:BYTE_3// 00000000739C: 7E601CF9 0003162E
	v_cvt_pk_fp8_f32 v51, v47, v48                             // 0000000073A4: D2A20033 0002612F
	v_lshrrev_b32_e32 v49, 4, v46                              // 0000000073AC: 20625C84
	v_cvt_off_f32_i4_e32 v47, v49                              // 0000000073B0: 7E5E1D31
	v_cvt_off_f32_i4_sdwa v48, v49 dst_sel:DWORD dst_unused:UNUSED_PRESERVE src0_sel:BYTE_2// 0000000073B4: 7E601CF9 00021631
	v_cvt_pk_fp8_f32 v50, v47, v48 op_sel:[0,0,1]              // 0000000073BC: D2A24032 0002612F
	v_cvt_off_f32_i4_sdwa v47, v49 dst_sel:DWORD dst_unused:UNUSED_PRESERVE src0_sel:BYTE_1// 0000000073C4: 7E5E1CF9 00011631
	v_cvt_off_f32_i4_sdwa v48, v49 dst_sel:DWORD dst_unused:UNUSED_PRESERVE src0_sel:BYTE_3// 0000000073CC: 7E601CF9 00031631
	v_cvt_pk_fp8_f32 v51, v47, v48 op_sel:[0,0,1]              // 0000000073D4: D2A24033 0002612F
	v_accvgpr_write_b32 a102, v50                              // 0000000073DC: D3D94066 18000132
	v_accvgpr_write_b32 a103, v51                              // 0000000073E4: D3D94067 18000133
	s_nop 3                                                    // 0000000073EC: BF800003
	v_mfma_f32_16x16x32_fp8_fp8 v[80:83], a[102:103], v[198:199], v[80:83]// 0000000073F0: D3F30050 0D438D66
	ds_read_b128 v[160:163], v2                                // 0000000073F8: D9FE0000 A0000002
	v_accvgpr_read_b32 v46, a116                               // 000000007400: D3D8402E 18000174
	v_cvt_off_f32_i4_e32 v47, v46                              // 000000007408: 7E5E1D2E
	v_cvt_off_f32_i4_sdwa v48, v46 dst_sel:DWORD dst_unused:UNUSED_PRESERVE src0_sel:BYTE_2// 00000000740C: 7E601CF9 0002162E
	v_cvt_pk_fp8_f32 v50, v47, v48                             // 000000007414: D2A20032 0002612F
	v_cvt_off_f32_i4_sdwa v47, v46 dst_sel:DWORD dst_unused:UNUSED_PRESERVE src0_sel:BYTE_1// 00000000741C: 7E5E1CF9 0001162E
	v_cvt_off_f32_i4_sdwa v48, v46 dst_sel:DWORD dst_unused:UNUSED_PRESERVE src0_sel:BYTE_3// 000000007424: 7E601CF9 0003162E
	v_cvt_pk_fp8_f32 v51, v47, v48                             // 00000000742C: D2A20033 0002612F
	v_lshrrev_b32_e32 v49, 4, v46                              // 000000007434: 20625C84
	v_cvt_off_f32_i4_e32 v47, v49                              // 000000007438: 7E5E1D31
	v_cvt_off_f32_i4_sdwa v48, v49 dst_sel:DWORD dst_unused:UNUSED_PRESERVE src0_sel:BYTE_2// 00000000743C: 7E601CF9 00021631
	v_cvt_pk_fp8_f32 v50, v47, v48 op_sel:[0,0,1]              // 000000007444: D2A24032 0002612F
	v_cvt_off_f32_i4_sdwa v47, v49 dst_sel:DWORD dst_unused:UNUSED_PRESERVE src0_sel:BYTE_1// 00000000744C: 7E5E1CF9 00011631
	v_cvt_off_f32_i4_sdwa v48, v49 dst_sel:DWORD dst_unused:UNUSED_PRESERVE src0_sel:BYTE_3// 000000007454: 7E601CF9 00031631
	v_cvt_pk_fp8_f32 v51, v47, v48 op_sel:[0,0,1]              // 00000000745C: D2A24033 0002612F
	v_accvgpr_write_b32 a104, v50                              // 000000007464: D3D94068 18000132
	v_accvgpr_write_b32 a105, v51                              // 00000000746C: D3D94069 18000133
	s_nop 3                                                    // 000000007474: BF800003
	v_mfma_f32_16x16x32_fp8_fp8 v[80:83], a[104:105], v[200:201], v[80:83]// 000000007478: D3F30050 0D439168
	v_accvgpr_read_b32 v46, a117                               // 000000007480: D3D8402E 18000175
	v_cvt_off_f32_i4_e32 v47, v46                              // 000000007488: 7E5E1D2E
	v_cvt_off_f32_i4_sdwa v48, v46 dst_sel:DWORD dst_unused:UNUSED_PRESERVE src0_sel:BYTE_2// 00000000748C: 7E601CF9 0002162E
	v_cvt_pk_fp8_f32 v50, v47, v48                             // 000000007494: D2A20032 0002612F
	v_cvt_off_f32_i4_sdwa v47, v46 dst_sel:DWORD dst_unused:UNUSED_PRESERVE src0_sel:BYTE_1// 00000000749C: 7E5E1CF9 0001162E
	v_cvt_off_f32_i4_sdwa v48, v46 dst_sel:DWORD dst_unused:UNUSED_PRESERVE src0_sel:BYTE_3// 0000000074A4: 7E601CF9 0003162E
	v_cvt_pk_fp8_f32 v51, v47, v48                             // 0000000074AC: D2A20033 0002612F
	v_lshrrev_b32_e32 v49, 4, v46                              // 0000000074B4: 20625C84
	v_cvt_off_f32_i4_e32 v47, v49                              // 0000000074B8: 7E5E1D31
	v_cvt_off_f32_i4_sdwa v48, v49 dst_sel:DWORD dst_unused:UNUSED_PRESERVE src0_sel:BYTE_2// 0000000074BC: 7E601CF9 00021631
	v_cvt_pk_fp8_f32 v50, v47, v48 op_sel:[0,0,1]              // 0000000074C4: D2A24032 0002612F
	v_cvt_off_f32_i4_sdwa v47, v49 dst_sel:DWORD dst_unused:UNUSED_PRESERVE src0_sel:BYTE_1// 0000000074CC: 7E5E1CF9 00011631
	v_cvt_off_f32_i4_sdwa v48, v49 dst_sel:DWORD dst_unused:UNUSED_PRESERVE src0_sel:BYTE_3// 0000000074D4: 7E601CF9 00031631
	v_cvt_pk_fp8_f32 v51, v47, v48 op_sel:[0,0,1]              // 0000000074DC: D2A24033 0002612F
	v_accvgpr_write_b32 a106, v50                              // 0000000074E4: D3D9406A 18000132
	v_accvgpr_write_b32 a107, v51                              // 0000000074EC: D3D9406B 18000133
	s_nop 3                                                    // 0000000074F4: BF800003
	v_mfma_f32_16x16x32_fp8_fp8 v[80:83], a[106:107], v[202:203], v[80:83]// 0000000074F8: D3F30050 0D43956A
	v_accvgpr_read_b32 v46, a118                               // 000000007500: D3D8402E 18000176
	v_cvt_off_f32_i4_e32 v47, v46                              // 000000007508: 7E5E1D2E
	v_cvt_off_f32_i4_sdwa v48, v46 dst_sel:DWORD dst_unused:UNUSED_PRESERVE src0_sel:BYTE_2// 00000000750C: 7E601CF9 0002162E
	v_cvt_pk_fp8_f32 v50, v47, v48                             // 000000007514: D2A20032 0002612F
	v_cvt_off_f32_i4_sdwa v47, v46 dst_sel:DWORD dst_unused:UNUSED_PRESERVE src0_sel:BYTE_1// 00000000751C: 7E5E1CF9 0001162E
	v_cvt_off_f32_i4_sdwa v48, v46 dst_sel:DWORD dst_unused:UNUSED_PRESERVE src0_sel:BYTE_3// 000000007524: 7E601CF9 0003162E
	v_cvt_pk_fp8_f32 v51, v47, v48                             // 00000000752C: D2A20033 0002612F
	v_lshrrev_b32_e32 v49, 4, v46                              // 000000007534: 20625C84
	v_cvt_off_f32_i4_e32 v47, v49                              // 000000007538: 7E5E1D31
	v_cvt_off_f32_i4_sdwa v48, v49 dst_sel:DWORD dst_unused:UNUSED_PRESERVE src0_sel:BYTE_2// 00000000753C: 7E601CF9 00021631
	v_cvt_pk_fp8_f32 v50, v47, v48 op_sel:[0,0,1]              // 000000007544: D2A24032 0002612F
	v_cvt_off_f32_i4_sdwa v47, v49 dst_sel:DWORD dst_unused:UNUSED_PRESERVE src0_sel:BYTE_1// 00000000754C: 7E5E1CF9 00011631
	v_cvt_off_f32_i4_sdwa v48, v49 dst_sel:DWORD dst_unused:UNUSED_PRESERVE src0_sel:BYTE_3// 000000007554: 7E601CF9 00031631
	v_cvt_pk_fp8_f32 v51, v47, v48 op_sel:[0,0,1]              // 00000000755C: D2A24033 0002612F
	v_accvgpr_write_b32 a108, v50                              // 000000007564: D3D9406C 18000132
	v_accvgpr_write_b32 a109, v51                              // 00000000756C: D3D9406D 18000133
	s_nop 3                                                    // 000000007574: BF800003
	v_mfma_f32_16x16x32_fp8_fp8 v[80:83], a[108:109], v[204:205], v[80:83]// 000000007578: D3F30050 0D43996C
	v_accvgpr_read_b32 v46, a119                               // 000000007580: D3D8402E 18000177
	v_cvt_off_f32_i4_e32 v47, v46                              // 000000007588: 7E5E1D2E
	v_cvt_off_f32_i4_sdwa v48, v46 dst_sel:DWORD dst_unused:UNUSED_PRESERVE src0_sel:BYTE_2// 00000000758C: 7E601CF9 0002162E
	v_cvt_pk_fp8_f32 v50, v47, v48                             // 000000007594: D2A20032 0002612F
	v_cvt_off_f32_i4_sdwa v47, v46 dst_sel:DWORD dst_unused:UNUSED_PRESERVE src0_sel:BYTE_1// 00000000759C: 7E5E1CF9 0001162E
	v_cvt_off_f32_i4_sdwa v48, v46 dst_sel:DWORD dst_unused:UNUSED_PRESERVE src0_sel:BYTE_3// 0000000075A4: 7E601CF9 0003162E
	v_cvt_pk_fp8_f32 v51, v47, v48                             // 0000000075AC: D2A20033 0002612F
	v_lshrrev_b32_e32 v49, 4, v46                              // 0000000075B4: 20625C84
	v_cvt_off_f32_i4_e32 v47, v49                              // 0000000075B8: 7E5E1D31
	v_cvt_off_f32_i4_sdwa v48, v49 dst_sel:DWORD dst_unused:UNUSED_PRESERVE src0_sel:BYTE_2// 0000000075BC: 7E601CF9 00021631
	v_cvt_pk_fp8_f32 v50, v47, v48 op_sel:[0,0,1]              // 0000000075C4: D2A24032 0002612F
	v_cvt_off_f32_i4_sdwa v47, v49 dst_sel:DWORD dst_unused:UNUSED_PRESERVE src0_sel:BYTE_1// 0000000075CC: 7E5E1CF9 00011631
	v_cvt_off_f32_i4_sdwa v48, v49 dst_sel:DWORD dst_unused:UNUSED_PRESERVE src0_sel:BYTE_3// 0000000075D4: 7E601CF9 00031631
	v_cvt_pk_fp8_f32 v51, v47, v48 op_sel:[0,0,1]              // 0000000075DC: D2A24033 0002612F
	v_accvgpr_write_b32 a110, v50                              // 0000000075E4: D3D9406E 18000132
	v_accvgpr_write_b32 a111, v51                              // 0000000075EC: D3D9406F 18000133
	s_nop 3                                                    // 0000000075F4: BF800003
	v_mfma_f32_16x16x32_fp8_fp8 v[80:83], a[110:111], v[206:207], v[80:83]// 0000000075F8: D3F30050 0D439D6E
	ds_read_b128 v[164:167], v2 offset:16                      // 000000007600: D9FE0010 A4000002
	v_mfma_f32_16x16x32_fp8_fp8 v[84:87], a[96:97], v[208:209], v[84:87]// 000000007608: D3F30054 0D53A160
	v_mfma_f32_16x16x32_fp8_fp8 v[84:87], a[98:99], v[210:211], v[84:87]// 000000007610: D3F30054 0D53A562
	buffer_load_dwordx4 a[52:55], v34, s[24:27], 0 offen offset:1024// 000000007618: E05C1400 80863422
	v_mfma_f32_16x16x32_fp8_fp8 v[84:87], a[100:101], v[212:213], v[84:87]// 000000007620: D3F30054 0D53A964
	v_mfma_f32_16x16x32_fp8_fp8 v[84:87], a[102:103], v[214:215], v[84:87]// 000000007628: D3F30054 0D53AD66
	ds_read_b128 v[168:171], v2 offset:128                     // 000000007630: D9FE0080 A8000002
	v_mfma_f32_16x16x32_fp8_fp8 v[84:87], a[104:105], v[216:217], v[84:87]// 000000007638: D3F30054 0D53B168
	v_mfma_f32_16x16x32_fp8_fp8 v[84:87], a[106:107], v[218:219], v[84:87]// 000000007640: D3F30054 0D53B56A
	v_mfma_f32_16x16x32_fp8_fp8 v[84:87], a[108:109], v[220:221], v[84:87]// 000000007648: D3F30054 0D53B96C
	v_mfma_f32_16x16x32_fp8_fp8 v[84:87], a[110:111], v[222:223], v[84:87]// 000000007650: D3F30054 0D53BD6E
	ds_read_b128 v[172:175], v2 offset:144                     // 000000007658: D9FE0090 AC000002
	s_waitcnt vmcnt(6)                                         // 000000007660: BF8C0F76
	v_accvgpr_read_b32 v46, a120                               // 000000007664: D3D8402E 18000178
	v_cvt_off_f32_i4_e32 v47, v46                              // 00000000766C: 7E5E1D2E
	v_cvt_off_f32_i4_sdwa v48, v46 dst_sel:DWORD dst_unused:UNUSED_PRESERVE src0_sel:BYTE_2// 000000007670: 7E601CF9 0002162E
	v_cvt_pk_fp8_f32 v50, v47, v48                             // 000000007678: D2A20032 0002612F
	v_cvt_off_f32_i4_sdwa v47, v46 dst_sel:DWORD dst_unused:UNUSED_PRESERVE src0_sel:BYTE_1// 000000007680: 7E5E1CF9 0001162E
	v_cvt_off_f32_i4_sdwa v48, v46 dst_sel:DWORD dst_unused:UNUSED_PRESERVE src0_sel:BYTE_3// 000000007688: 7E601CF9 0003162E
	v_cvt_pk_fp8_f32 v51, v47, v48                             // 000000007690: D2A20033 0002612F
	v_lshrrev_b32_e32 v49, 4, v46                              // 000000007698: 20625C84
	v_cvt_off_f32_i4_e32 v47, v49                              // 00000000769C: 7E5E1D31
	v_cvt_off_f32_i4_sdwa v48, v49 dst_sel:DWORD dst_unused:UNUSED_PRESERVE src0_sel:BYTE_2// 0000000076A0: 7E601CF9 00021631
	v_cvt_pk_fp8_f32 v50, v47, v48 op_sel:[0,0,1]              // 0000000076A8: D2A24032 0002612F
	v_cvt_off_f32_i4_sdwa v47, v49 dst_sel:DWORD dst_unused:UNUSED_PRESERVE src0_sel:BYTE_1// 0000000076B0: 7E5E1CF9 00011631
	v_cvt_off_f32_i4_sdwa v48, v49 dst_sel:DWORD dst_unused:UNUSED_PRESERVE src0_sel:BYTE_3// 0000000076B8: 7E601CF9 00031631
	v_cvt_pk_fp8_f32 v51, v47, v48 op_sel:[0,0,1]              // 0000000076C0: D2A24033 0002612F
	v_accvgpr_write_b32 a112, v50                              // 0000000076C8: D3D94070 18000132
	v_accvgpr_write_b32 a113, v51                              // 0000000076D0: D3D94071 18000133
	s_nop 3                                                    // 0000000076D8: BF800003
	v_mfma_f32_16x16x32_fp8_fp8 v[88:91], a[112:113], v[192:193], v[88:91]// 0000000076DC: D3F30058 0D638170
	v_accvgpr_read_b32 v46, a121                               // 0000000076E4: D3D8402E 18000179
	v_cvt_off_f32_i4_e32 v47, v46                              // 0000000076EC: 7E5E1D2E
	v_cvt_off_f32_i4_sdwa v48, v46 dst_sel:DWORD dst_unused:UNUSED_PRESERVE src0_sel:BYTE_2// 0000000076F0: 7E601CF9 0002162E
	v_cvt_pk_fp8_f32 v50, v47, v48                             // 0000000076F8: D2A20032 0002612F
	v_cvt_off_f32_i4_sdwa v47, v46 dst_sel:DWORD dst_unused:UNUSED_PRESERVE src0_sel:BYTE_1// 000000007700: 7E5E1CF9 0001162E
	v_cvt_off_f32_i4_sdwa v48, v46 dst_sel:DWORD dst_unused:UNUSED_PRESERVE src0_sel:BYTE_3// 000000007708: 7E601CF9 0003162E
	v_cvt_pk_fp8_f32 v51, v47, v48                             // 000000007710: D2A20033 0002612F
	v_lshrrev_b32_e32 v49, 4, v46                              // 000000007718: 20625C84
	v_cvt_off_f32_i4_e32 v47, v49                              // 00000000771C: 7E5E1D31
	v_cvt_off_f32_i4_sdwa v48, v49 dst_sel:DWORD dst_unused:UNUSED_PRESERVE src0_sel:BYTE_2// 000000007720: 7E601CF9 00021631
	v_cvt_pk_fp8_f32 v50, v47, v48 op_sel:[0,0,1]              // 000000007728: D2A24032 0002612F
	v_cvt_off_f32_i4_sdwa v47, v49 dst_sel:DWORD dst_unused:UNUSED_PRESERVE src0_sel:BYTE_1// 000000007730: 7E5E1CF9 00011631
	v_cvt_off_f32_i4_sdwa v48, v49 dst_sel:DWORD dst_unused:UNUSED_PRESERVE src0_sel:BYTE_3// 000000007738: 7E601CF9 00031631
	v_cvt_pk_fp8_f32 v51, v47, v48 op_sel:[0,0,1]              // 000000007740: D2A24033 0002612F
	v_accvgpr_write_b32 a114, v50                              // 000000007748: D3D94072 18000132
	v_accvgpr_write_b32 a115, v51                              // 000000007750: D3D94073 18000133
	s_nop 3                                                    // 000000007758: BF800003
	v_mfma_f32_16x16x32_fp8_fp8 v[88:91], a[114:115], v[194:195], v[88:91]// 00000000775C: D3F30058 0D638572
	buffer_load_dwordx4 a[56:59], v35, s[24:27], 0 offen       // 000000007764: E05C1000 80863823
	v_accvgpr_read_b32 v46, a122                               // 00000000776C: D3D8402E 1800017A
	v_cvt_off_f32_i4_e32 v47, v46                              // 000000007774: 7E5E1D2E
	v_cvt_off_f32_i4_sdwa v48, v46 dst_sel:DWORD dst_unused:UNUSED_PRESERVE src0_sel:BYTE_2// 000000007778: 7E601CF9 0002162E
	v_cvt_pk_fp8_f32 v50, v47, v48                             // 000000007780: D2A20032 0002612F
	v_cvt_off_f32_i4_sdwa v47, v46 dst_sel:DWORD dst_unused:UNUSED_PRESERVE src0_sel:BYTE_1// 000000007788: 7E5E1CF9 0001162E
	v_cvt_off_f32_i4_sdwa v48, v46 dst_sel:DWORD dst_unused:UNUSED_PRESERVE src0_sel:BYTE_3// 000000007790: 7E601CF9 0003162E
	v_cvt_pk_fp8_f32 v51, v47, v48                             // 000000007798: D2A20033 0002612F
	v_lshrrev_b32_e32 v49, 4, v46                              // 0000000077A0: 20625C84
	v_cvt_off_f32_i4_e32 v47, v49                              // 0000000077A4: 7E5E1D31
	v_cvt_off_f32_i4_sdwa v48, v49 dst_sel:DWORD dst_unused:UNUSED_PRESERVE src0_sel:BYTE_2// 0000000077A8: 7E601CF9 00021631
	v_cvt_pk_fp8_f32 v50, v47, v48 op_sel:[0,0,1]              // 0000000077B0: D2A24032 0002612F
	v_cvt_off_f32_i4_sdwa v47, v49 dst_sel:DWORD dst_unused:UNUSED_PRESERVE src0_sel:BYTE_1// 0000000077B8: 7E5E1CF9 00011631
	v_cvt_off_f32_i4_sdwa v48, v49 dst_sel:DWORD dst_unused:UNUSED_PRESERVE src0_sel:BYTE_3// 0000000077C0: 7E601CF9 00031631
	v_cvt_pk_fp8_f32 v51, v47, v48 op_sel:[0,0,1]              // 0000000077C8: D2A24033 0002612F
	v_accvgpr_write_b32 a116, v50                              // 0000000077D0: D3D94074 18000132
	v_accvgpr_write_b32 a117, v51                              // 0000000077D8: D3D94075 18000133
	s_nop 3                                                    // 0000000077E0: BF800003
	v_mfma_f32_16x16x32_fp8_fp8 v[88:91], a[116:117], v[196:197], v[88:91]// 0000000077E4: D3F30058 0D638974
	v_accvgpr_read_b32 v46, a123                               // 0000000077EC: D3D8402E 1800017B
	v_cvt_off_f32_i4_e32 v47, v46                              // 0000000077F4: 7E5E1D2E
	v_cvt_off_f32_i4_sdwa v48, v46 dst_sel:DWORD dst_unused:UNUSED_PRESERVE src0_sel:BYTE_2// 0000000077F8: 7E601CF9 0002162E
	v_cvt_pk_fp8_f32 v50, v47, v48                             // 000000007800: D2A20032 0002612F
	v_cvt_off_f32_i4_sdwa v47, v46 dst_sel:DWORD dst_unused:UNUSED_PRESERVE src0_sel:BYTE_1// 000000007808: 7E5E1CF9 0001162E
	v_cvt_off_f32_i4_sdwa v48, v46 dst_sel:DWORD dst_unused:UNUSED_PRESERVE src0_sel:BYTE_3// 000000007810: 7E601CF9 0003162E
	v_cvt_pk_fp8_f32 v51, v47, v48                             // 000000007818: D2A20033 0002612F
	v_lshrrev_b32_e32 v49, 4, v46                              // 000000007820: 20625C84
	v_cvt_off_f32_i4_e32 v47, v49                              // 000000007824: 7E5E1D31
	v_cvt_off_f32_i4_sdwa v48, v49 dst_sel:DWORD dst_unused:UNUSED_PRESERVE src0_sel:BYTE_2// 000000007828: 7E601CF9 00021631
	v_cvt_pk_fp8_f32 v50, v47, v48 op_sel:[0,0,1]              // 000000007830: D2A24032 0002612F
	v_cvt_off_f32_i4_sdwa v47, v49 dst_sel:DWORD dst_unused:UNUSED_PRESERVE src0_sel:BYTE_1// 000000007838: 7E5E1CF9 00011631
	v_cvt_off_f32_i4_sdwa v48, v49 dst_sel:DWORD dst_unused:UNUSED_PRESERVE src0_sel:BYTE_3// 000000007840: 7E601CF9 00031631
	v_cvt_pk_fp8_f32 v51, v47, v48 op_sel:[0,0,1]              // 000000007848: D2A24033 0002612F
	v_accvgpr_write_b32 a118, v50                              // 000000007850: D3D94076 18000132
	v_accvgpr_write_b32 a119, v51                              // 000000007858: D3D94077 18000133
	s_nop 3                                                    // 000000007860: BF800003
	v_mfma_f32_16x16x32_fp8_fp8 v[88:91], a[118:119], v[198:199], v[88:91]// 000000007864: D3F30058 0D638D76
	ds_read_b128 v[176:179], v2 offset:1024                    // 00000000786C: D9FE0400 B0000002
	v_accvgpr_read_b32 v46, a124                               // 000000007874: D3D8402E 1800017C
	v_cvt_off_f32_i4_e32 v47, v46                              // 00000000787C: 7E5E1D2E
	v_cvt_off_f32_i4_sdwa v48, v46 dst_sel:DWORD dst_unused:UNUSED_PRESERVE src0_sel:BYTE_2// 000000007880: 7E601CF9 0002162E
	v_cvt_pk_fp8_f32 v50, v47, v48                             // 000000007888: D2A20032 0002612F
	v_cvt_off_f32_i4_sdwa v47, v46 dst_sel:DWORD dst_unused:UNUSED_PRESERVE src0_sel:BYTE_1// 000000007890: 7E5E1CF9 0001162E
	v_cvt_off_f32_i4_sdwa v48, v46 dst_sel:DWORD dst_unused:UNUSED_PRESERVE src0_sel:BYTE_3// 000000007898: 7E601CF9 0003162E
	v_cvt_pk_fp8_f32 v51, v47, v48                             // 0000000078A0: D2A20033 0002612F
	v_lshrrev_b32_e32 v49, 4, v46                              // 0000000078A8: 20625C84
	v_cvt_off_f32_i4_e32 v47, v49                              // 0000000078AC: 7E5E1D31
	v_cvt_off_f32_i4_sdwa v48, v49 dst_sel:DWORD dst_unused:UNUSED_PRESERVE src0_sel:BYTE_2// 0000000078B0: 7E601CF9 00021631
	v_cvt_pk_fp8_f32 v50, v47, v48 op_sel:[0,0,1]              // 0000000078B8: D2A24032 0002612F
	v_cvt_off_f32_i4_sdwa v47, v49 dst_sel:DWORD dst_unused:UNUSED_PRESERVE src0_sel:BYTE_1// 0000000078C0: 7E5E1CF9 00011631
	v_cvt_off_f32_i4_sdwa v48, v49 dst_sel:DWORD dst_unused:UNUSED_PRESERVE src0_sel:BYTE_3// 0000000078C8: 7E601CF9 00031631
	v_cvt_pk_fp8_f32 v51, v47, v48 op_sel:[0,0,1]              // 0000000078D0: D2A24033 0002612F
	v_accvgpr_write_b32 a120, v50                              // 0000000078D8: D3D94078 18000132
	v_accvgpr_write_b32 a121, v51                              // 0000000078E0: D3D94079 18000133
	s_nop 3                                                    // 0000000078E8: BF800003
	v_mfma_f32_16x16x32_fp8_fp8 v[88:91], a[120:121], v[200:201], v[88:91]// 0000000078EC: D3F30058 0D639178
	v_accvgpr_read_b32 v46, a125                               // 0000000078F4: D3D8402E 1800017D
	v_cvt_off_f32_i4_e32 v47, v46                              // 0000000078FC: 7E5E1D2E
	v_cvt_off_f32_i4_sdwa v48, v46 dst_sel:DWORD dst_unused:UNUSED_PRESERVE src0_sel:BYTE_2// 000000007900: 7E601CF9 0002162E
	v_cvt_pk_fp8_f32 v50, v47, v48                             // 000000007908: D2A20032 0002612F
	v_cvt_off_f32_i4_sdwa v47, v46 dst_sel:DWORD dst_unused:UNUSED_PRESERVE src0_sel:BYTE_1// 000000007910: 7E5E1CF9 0001162E
	v_cvt_off_f32_i4_sdwa v48, v46 dst_sel:DWORD dst_unused:UNUSED_PRESERVE src0_sel:BYTE_3// 000000007918: 7E601CF9 0003162E
	v_cvt_pk_fp8_f32 v51, v47, v48                             // 000000007920: D2A20033 0002612F
	v_lshrrev_b32_e32 v49, 4, v46                              // 000000007928: 20625C84
	v_cvt_off_f32_i4_e32 v47, v49                              // 00000000792C: 7E5E1D31
	v_cvt_off_f32_i4_sdwa v48, v49 dst_sel:DWORD dst_unused:UNUSED_PRESERVE src0_sel:BYTE_2// 000000007930: 7E601CF9 00021631
	v_cvt_pk_fp8_f32 v50, v47, v48 op_sel:[0,0,1]              // 000000007938: D2A24032 0002612F
	v_cvt_off_f32_i4_sdwa v47, v49 dst_sel:DWORD dst_unused:UNUSED_PRESERVE src0_sel:BYTE_1// 000000007940: 7E5E1CF9 00011631
	v_cvt_off_f32_i4_sdwa v48, v49 dst_sel:DWORD dst_unused:UNUSED_PRESERVE src0_sel:BYTE_3// 000000007948: 7E601CF9 00031631
	v_cvt_pk_fp8_f32 v51, v47, v48 op_sel:[0,0,1]              // 000000007950: D2A24033 0002612F
	v_accvgpr_write_b32 a122, v50                              // 000000007958: D3D9407A 18000132
	v_accvgpr_write_b32 a123, v51                              // 000000007960: D3D9407B 18000133
	s_nop 3                                                    // 000000007968: BF800003
	v_mfma_f32_16x16x32_fp8_fp8 v[88:91], a[122:123], v[202:203], v[88:91]// 00000000796C: D3F30058 0D63957A
	v_accvgpr_read_b32 v46, a126                               // 000000007974: D3D8402E 1800017E
	v_cvt_off_f32_i4_e32 v47, v46                              // 00000000797C: 7E5E1D2E
	v_cvt_off_f32_i4_sdwa v48, v46 dst_sel:DWORD dst_unused:UNUSED_PRESERVE src0_sel:BYTE_2// 000000007980: 7E601CF9 0002162E
	v_cvt_pk_fp8_f32 v50, v47, v48                             // 000000007988: D2A20032 0002612F
	v_cvt_off_f32_i4_sdwa v47, v46 dst_sel:DWORD dst_unused:UNUSED_PRESERVE src0_sel:BYTE_1// 000000007990: 7E5E1CF9 0001162E
	v_cvt_off_f32_i4_sdwa v48, v46 dst_sel:DWORD dst_unused:UNUSED_PRESERVE src0_sel:BYTE_3// 000000007998: 7E601CF9 0003162E
	v_cvt_pk_fp8_f32 v51, v47, v48                             // 0000000079A0: D2A20033 0002612F
	v_lshrrev_b32_e32 v49, 4, v46                              // 0000000079A8: 20625C84
	v_cvt_off_f32_i4_e32 v47, v49                              // 0000000079AC: 7E5E1D31
	v_cvt_off_f32_i4_sdwa v48, v49 dst_sel:DWORD dst_unused:UNUSED_PRESERVE src0_sel:BYTE_2// 0000000079B0: 7E601CF9 00021631
	v_cvt_pk_fp8_f32 v50, v47, v48 op_sel:[0,0,1]              // 0000000079B8: D2A24032 0002612F
	v_cvt_off_f32_i4_sdwa v47, v49 dst_sel:DWORD dst_unused:UNUSED_PRESERVE src0_sel:BYTE_1// 0000000079C0: 7E5E1CF9 00011631
	v_cvt_off_f32_i4_sdwa v48, v49 dst_sel:DWORD dst_unused:UNUSED_PRESERVE src0_sel:BYTE_3// 0000000079C8: 7E601CF9 00031631
	v_cvt_pk_fp8_f32 v51, v47, v48 op_sel:[0,0,1]              // 0000000079D0: D2A24033 0002612F
	v_accvgpr_write_b32 a124, v50                              // 0000000079D8: D3D9407C 18000132
	v_accvgpr_write_b32 a125, v51                              // 0000000079E0: D3D9407D 18000133
	s_nop 3                                                    // 0000000079E8: BF800003
	v_mfma_f32_16x16x32_fp8_fp8 v[88:91], a[124:125], v[204:205], v[88:91]// 0000000079EC: D3F30058 0D63997C
	v_accvgpr_read_b32 v46, a127                               // 0000000079F4: D3D8402E 1800017F
	v_cvt_off_f32_i4_e32 v47, v46                              // 0000000079FC: 7E5E1D2E
	v_cvt_off_f32_i4_sdwa v48, v46 dst_sel:DWORD dst_unused:UNUSED_PRESERVE src0_sel:BYTE_2// 000000007A00: 7E601CF9 0002162E
	v_cvt_pk_fp8_f32 v50, v47, v48                             // 000000007A08: D2A20032 0002612F
	v_cvt_off_f32_i4_sdwa v47, v46 dst_sel:DWORD dst_unused:UNUSED_PRESERVE src0_sel:BYTE_1// 000000007A10: 7E5E1CF9 0001162E
	v_cvt_off_f32_i4_sdwa v48, v46 dst_sel:DWORD dst_unused:UNUSED_PRESERVE src0_sel:BYTE_3// 000000007A18: 7E601CF9 0003162E
	v_cvt_pk_fp8_f32 v51, v47, v48                             // 000000007A20: D2A20033 0002612F
	v_lshrrev_b32_e32 v49, 4, v46                              // 000000007A28: 20625C84
	v_cvt_off_f32_i4_e32 v47, v49                              // 000000007A2C: 7E5E1D31
	v_cvt_off_f32_i4_sdwa v48, v49 dst_sel:DWORD dst_unused:UNUSED_PRESERVE src0_sel:BYTE_2// 000000007A30: 7E601CF9 00021631
	v_cvt_pk_fp8_f32 v50, v47, v48 op_sel:[0,0,1]              // 000000007A38: D2A24032 0002612F
	v_cvt_off_f32_i4_sdwa v47, v49 dst_sel:DWORD dst_unused:UNUSED_PRESERVE src0_sel:BYTE_1// 000000007A40: 7E5E1CF9 00011631
	v_cvt_off_f32_i4_sdwa v48, v49 dst_sel:DWORD dst_unused:UNUSED_PRESERVE src0_sel:BYTE_3// 000000007A48: 7E601CF9 00031631
	v_cvt_pk_fp8_f32 v51, v47, v48 op_sel:[0,0,1]              // 000000007A50: D2A24033 0002612F
	v_accvgpr_write_b32 a126, v50                              // 000000007A58: D3D9407E 18000132
	v_accvgpr_write_b32 a127, v51                              // 000000007A60: D3D9407F 18000133
	s_nop 3                                                    // 000000007A68: BF800003
	v_mfma_f32_16x16x32_fp8_fp8 v[88:91], a[126:127], v[206:207], v[88:91]// 000000007A6C: D3F30058 0D639D7E
	ds_read_b128 v[180:183], v2 offset:1040                    // 000000007A74: D9FE0410 B4000002
	v_mfma_f32_16x16x32_fp8_fp8 v[92:95], a[112:113], v[208:209], v[92:95]// 000000007A7C: D3F3005C 0D73A170
	v_mfma_f32_16x16x32_fp8_fp8 v[92:95], a[114:115], v[210:211], v[92:95]// 000000007A84: D3F3005C 0D73A572
	buffer_load_dwordx4 a[60:63], v35, s[24:27], 0 offen offset:1024// 000000007A8C: E05C1400 80863C23
	v_mfma_f32_16x16x32_fp8_fp8 v[92:95], a[116:117], v[212:213], v[92:95]// 000000007A94: D3F3005C 0D73A974
	v_mfma_f32_16x16x32_fp8_fp8 v[92:95], a[118:119], v[214:215], v[92:95]// 000000007A9C: D3F3005C 0D73AD76
	ds_read_b128 v[184:187], v2 offset:1152                    // 000000007AA4: D9FE0480 B8000002
	v_mfma_f32_16x16x32_fp8_fp8 v[92:95], a[120:121], v[216:217], v[92:95]// 000000007AAC: D3F3005C 0D73B178
	v_mfma_f32_16x16x32_fp8_fp8 v[92:95], a[122:123], v[218:219], v[92:95]// 000000007AB4: D3F3005C 0D73B57A
	v_mfma_f32_16x16x32_fp8_fp8 v[92:95], a[124:125], v[220:221], v[92:95]// 000000007ABC: D3F3005C 0D73B97C
	v_mfma_f32_16x16x32_fp8_fp8 v[92:95], a[126:127], v[222:223], v[92:95]// 000000007AC4: D3F3005C 0D73BD7E
	ds_read_b128 v[188:191], v2 offset:1168                    // 000000007ACC: D9FE0490 BC000002
	s_add_u32 s60, 0x200, s80                                  // 000000007AD4: 803C50FF 00000200
	s_cmp_lt_u32 s60, s81                                      // 000000007ADC: BF0A513C
	s_cselect_b32 s57, s57, 0                                  // 000000007AE0: 85398039
	s_add_u32 s60, 0x200, s80                                  // 000000007AE4: 803C50FF 00000200
	s_cmp_lt_u32 s60, s81                                      // 000000007AEC: BF0A513C
	s_cselect_b32 s58, s58, 0                                  // 000000007AF0: 853A803A
	s_add_u32 s20, s57, s20                                    // 000000007AF4: 80141439
	s_addc_u32 s21, 0, s21                                     // 000000007AF8: 82151580
	s_add_u32 s24, s58, s24                                    // 000000007AFC: 8018183A
	s_addc_u32 s25, 0, s25                                     // 000000007B00: 82191980
	s_add_u32 s92, s90, s92                                    // 000000007B04: 805C5C5A
	s_addc_u32 s93, 0, s93                                     // 000000007B08: 825D5D80
	s_addk_i32 s80, 0x100                                      // 000000007B0C: B7500100
	s_cmp_lt_i32 s80, s81                                      // 000000007B10: BF045150
	s_cbranch_scc0 label_1407                                  // 000000007B14: BF840001
	s_branch label_0236                                        // 000000007B18: BF82EE2F

0000000000007b1c <label_1407>:
	s_mov_b32 s36, -1                                          // 000000007B1C: BEA400C1
	s_mov_b32 s37, -1                                          // 000000007B20: BEA500C1
	s_mov_b64 s[60:61], 0                                      // 000000007B24: BEBC0180
	s_cmp_lt_u32 s82, s66                                      // 000000007B28: BF0A4252
	s_cselect_b64 s[20:21], s[36:37], s[60:61]                 // 000000007B2C: 85943C24
	s_cmp_lt_u32 s83, s66                                      // 000000007B30: BF0A4253
	s_cselect_b64 s[22:23], s[36:37], s[60:61]                 // 000000007B34: 85963C24
	s_cmp_lt_u32 s84, s66                                      // 000000007B38: BF0A4254
	s_cselect_b64 s[24:25], s[36:37], s[60:61]                 // 000000007B3C: 85983C24
	s_cmp_lt_u32 s85, s66                                      // 000000007B40: BF0A4255
	s_cselect_b64 s[26:27], s[36:37], s[60:61]                 // 000000007B44: 859A3C24
	s_cmp_lt_u32 s86, s66                                      // 000000007B48: BF0A4256
	s_cselect_b64 s[28:29], s[36:37], s[60:61]                 // 000000007B4C: 859C3C24
	s_cmp_lt_u32 s87, s66                                      // 000000007B50: BF0A4257
	s_cselect_b64 s[30:31], s[36:37], s[60:61]                 // 000000007B54: 859E3C24
	s_cmp_lt_u32 s88, s66                                      // 000000007B58: BF0A4258
	s_cselect_b64 s[32:33], s[36:37], s[60:61]                 // 000000007B5C: 85A03C24
	s_cmp_lt_u32 s89, s66                                      // 000000007B60: BF0A4259
	s_cselect_b64 s[34:35], s[36:37], s[60:61]                 // 000000007B64: 85A23C24
	v_mul_f32_e32 v128, v13, v128                              // 000000007B68: 0B01010D
	v_mul_f32_e32 v128, 0x41800000, v128                       // 000000007B6C: 0B0100FF 41800000
	v_mul_f32_e32 v129, v13, v129                              // 000000007B74: 0B03030D
	v_mul_f32_e32 v129, 0x41800000, v129                       // 000000007B78: 0B0302FF 41800000
	v_mul_f32_e32 v130, v13, v130                              // 000000007B80: 0B05050D
	v_mul_f32_e32 v130, 0x41800000, v130                       // 000000007B84: 0B0504FF 41800000
	v_mul_f32_e32 v131, v13, v131                              // 000000007B8C: 0B07070D
	v_mul_f32_e32 v131, 0x41800000, v131                       // 000000007B90: 0B0706FF 41800000
	v_mul_f32_dpp v128, v15, v128 row_newbcast:0 row_mask:0xf bank_mask:0xf// 000000007B98: 0B0100FA FF01500F
	v_mul_f32_dpp v129, v15, v129 row_newbcast:1 row_mask:0xf bank_mask:0xf// 000000007BA0: 0B0302FA FF01510F
	v_mul_f32_dpp v130, v15, v130 row_newbcast:2 row_mask:0xf bank_mask:0xf// 000000007BA8: 0B0504FA FF01520F
	v_mul_f32_dpp v131, v15, v131 row_newbcast:3 row_mask:0xf bank_mask:0xf// 000000007BB0: 0B0706FA FF01530F
	v_mul_f32_e32 v132, v14, v132                              // 000000007BB8: 0B09090E
	v_mul_f32_e32 v132, 0x41800000, v132                       // 000000007BBC: 0B0908FF 41800000
	v_mul_f32_e32 v133, v14, v133                              // 000000007BC4: 0B0B0B0E
	v_mul_f32_e32 v133, 0x41800000, v133                       // 000000007BC8: 0B0B0AFF 41800000
	v_mul_f32_e32 v134, v14, v134                              // 000000007BD0: 0B0D0D0E
	v_mul_f32_e32 v134, 0x41800000, v134                       // 000000007BD4: 0B0D0CFF 41800000
	v_mul_f32_e32 v135, v14, v135                              // 000000007BDC: 0B0F0F0E
	v_mul_f32_e32 v135, 0x41800000, v135                       // 000000007BE0: 0B0F0EFF 41800000
	v_mul_f32_dpp v132, v15, v132 row_newbcast:0 row_mask:0xf bank_mask:0xf// 000000007BE8: 0B0908FA FF01500F
	v_mul_f32_dpp v133, v15, v133 row_newbcast:1 row_mask:0xf bank_mask:0xf// 000000007BF0: 0B0B0AFA FF01510F
	v_mul_f32_dpp v134, v15, v134 row_newbcast:2 row_mask:0xf bank_mask:0xf// 000000007BF8: 0B0D0CFA FF01520F
	v_mul_f32_dpp v135, v15, v135 row_newbcast:3 row_mask:0xf bank_mask:0xf// 000000007C00: 0B0F0EFA FF01530F
	v_mul_f32_e32 v136, v13, v136                              // 000000007C08: 0B11110D
	v_mul_f32_e32 v136, 0x41800000, v136                       // 000000007C0C: 0B1110FF 41800000
	v_mul_f32_e32 v137, v13, v137                              // 000000007C14: 0B13130D
	v_mul_f32_e32 v137, 0x41800000, v137                       // 000000007C18: 0B1312FF 41800000
	v_mul_f32_e32 v138, v13, v138                              // 000000007C20: 0B15150D
	v_mul_f32_e32 v138, 0x41800000, v138                       // 000000007C24: 0B1514FF 41800000
	v_mul_f32_e32 v139, v13, v139                              // 000000007C2C: 0B17170D
	v_mul_f32_e32 v139, 0x41800000, v139                       // 000000007C30: 0B1716FF 41800000
	v_mul_f32_dpp v136, v15, v136 row_newbcast:4 row_mask:0xf bank_mask:0xf// 000000007C38: 0B1110FA FF01540F
	v_mul_f32_dpp v137, v15, v137 row_newbcast:5 row_mask:0xf bank_mask:0xf// 000000007C40: 0B1312FA FF01550F
	v_mul_f32_dpp v138, v15, v138 row_newbcast:6 row_mask:0xf bank_mask:0xf// 000000007C48: 0B1514FA FF01560F
	v_mul_f32_dpp v139, v15, v139 row_newbcast:7 row_mask:0xf bank_mask:0xf// 000000007C50: 0B1716FA FF01570F
	v_mul_f32_e32 v140, v14, v140                              // 000000007C58: 0B19190E
	v_mul_f32_e32 v140, 0x41800000, v140                       // 000000007C5C: 0B1918FF 41800000
	v_mul_f32_e32 v141, v14, v141                              // 000000007C64: 0B1B1B0E
	v_mul_f32_e32 v141, 0x41800000, v141                       // 000000007C68: 0B1B1AFF 41800000
	v_mul_f32_e32 v142, v14, v142                              // 000000007C70: 0B1D1D0E
	v_mul_f32_e32 v142, 0x41800000, v142                       // 000000007C74: 0B1D1CFF 41800000
	v_mul_f32_e32 v143, v14, v143                              // 000000007C7C: 0B1F1F0E
	v_mul_f32_e32 v143, 0x41800000, v143                       // 000000007C80: 0B1F1EFF 41800000
	v_mul_f32_dpp v140, v15, v140 row_newbcast:4 row_mask:0xf bank_mask:0xf// 000000007C88: 0B1918FA FF01540F
	v_mul_f32_dpp v141, v15, v141 row_newbcast:5 row_mask:0xf bank_mask:0xf// 000000007C90: 0B1B1AFA FF01550F
	v_mul_f32_dpp v142, v15, v142 row_newbcast:6 row_mask:0xf bank_mask:0xf// 000000007C98: 0B1D1CFA FF01560F
	v_mul_f32_dpp v143, v15, v143 row_newbcast:7 row_mask:0xf bank_mask:0xf// 000000007CA0: 0B1F1EFA FF01570F
	v_mul_f32_e32 v144, v13, v144                              // 000000007CA8: 0B21210D
	v_mul_f32_e32 v144, 0x41800000, v144                       // 000000007CAC: 0B2120FF 41800000
	v_mul_f32_e32 v145, v13, v145                              // 000000007CB4: 0B23230D
	v_mul_f32_e32 v145, 0x41800000, v145                       // 000000007CB8: 0B2322FF 41800000
	v_mul_f32_e32 v146, v13, v146                              // 000000007CC0: 0B25250D
	v_mul_f32_e32 v146, 0x41800000, v146                       // 000000007CC4: 0B2524FF 41800000
	v_mul_f32_e32 v147, v13, v147                              // 000000007CCC: 0B27270D
	v_mul_f32_e32 v147, 0x41800000, v147                       // 000000007CD0: 0B2726FF 41800000
	v_mul_f32_dpp v144, v15, v144 row_newbcast:8 row_mask:0xf bank_mask:0xf// 000000007CD8: 0B2120FA FF01580F
	v_mul_f32_dpp v145, v15, v145 row_newbcast:9 row_mask:0xf bank_mask:0xf// 000000007CE0: 0B2322FA FF01590F
	v_mul_f32_dpp v146, v15, v146 row_newbcast:10 row_mask:0xf bank_mask:0xf// 000000007CE8: 0B2524FA FF015A0F
	v_mul_f32_dpp v147, v15, v147 row_newbcast:11 row_mask:0xf bank_mask:0xf// 000000007CF0: 0B2726FA FF015B0F
	v_mul_f32_e32 v148, v14, v148                              // 000000007CF8: 0B29290E
	v_mul_f32_e32 v148, 0x41800000, v148                       // 000000007CFC: 0B2928FF 41800000
	v_mul_f32_e32 v149, v14, v149                              // 000000007D04: 0B2B2B0E
	v_mul_f32_e32 v149, 0x41800000, v149                       // 000000007D08: 0B2B2AFF 41800000
	v_mul_f32_e32 v150, v14, v150                              // 000000007D10: 0B2D2D0E
	v_mul_f32_e32 v150, 0x41800000, v150                       // 000000007D14: 0B2D2CFF 41800000
	v_mul_f32_e32 v151, v14, v151                              // 000000007D1C: 0B2F2F0E
	v_mul_f32_e32 v151, 0x41800000, v151                       // 000000007D20: 0B2F2EFF 41800000
	v_mul_f32_dpp v148, v15, v148 row_newbcast:8 row_mask:0xf bank_mask:0xf// 000000007D28: 0B2928FA FF01580F
	v_mul_f32_dpp v149, v15, v149 row_newbcast:9 row_mask:0xf bank_mask:0xf// 000000007D30: 0B2B2AFA FF01590F
	v_mul_f32_dpp v150, v15, v150 row_newbcast:10 row_mask:0xf bank_mask:0xf// 000000007D38: 0B2D2CFA FF015A0F
	v_mul_f32_dpp v151, v15, v151 row_newbcast:11 row_mask:0xf bank_mask:0xf// 000000007D40: 0B2F2EFA FF015B0F
	v_mul_f32_e32 v152, v13, v152                              // 000000007D48: 0B31310D
	v_mul_f32_e32 v152, 0x41800000, v152                       // 000000007D4C: 0B3130FF 41800000
	v_mul_f32_e32 v153, v13, v153                              // 000000007D54: 0B33330D
	v_mul_f32_e32 v153, 0x41800000, v153                       // 000000007D58: 0B3332FF 41800000
	v_mul_f32_e32 v154, v13, v154                              // 000000007D60: 0B35350D
	v_mul_f32_e32 v154, 0x41800000, v154                       // 000000007D64: 0B3534FF 41800000
	v_mul_f32_e32 v155, v13, v155                              // 000000007D6C: 0B37370D
	v_mul_f32_e32 v155, 0x41800000, v155                       // 000000007D70: 0B3736FF 41800000
	v_mul_f32_dpp v152, v15, v152 row_newbcast:12 row_mask:0xf bank_mask:0xf// 000000007D78: 0B3130FA FF015C0F
	v_mul_f32_dpp v153, v15, v153 row_newbcast:13 row_mask:0xf bank_mask:0xf// 000000007D80: 0B3332FA FF015D0F
	v_mul_f32_dpp v154, v15, v154 row_newbcast:14 row_mask:0xf bank_mask:0xf// 000000007D88: 0B3534FA FF015E0F
	v_mul_f32_dpp v155, v15, v155 row_newbcast:15 row_mask:0xf bank_mask:0xf// 000000007D90: 0B3736FA FF015F0F
	v_mul_f32_e32 v156, v14, v156                              // 000000007D98: 0B39390E
	v_mul_f32_e32 v156, 0x41800000, v156                       // 000000007D9C: 0B3938FF 41800000
	v_mul_f32_e32 v157, v14, v157                              // 000000007DA4: 0B3B3B0E
	v_mul_f32_e32 v157, 0x41800000, v157                       // 000000007DA8: 0B3B3AFF 41800000
	v_mul_f32_e32 v158, v14, v158                              // 000000007DB0: 0B3D3D0E
	v_mul_f32_e32 v158, 0x41800000, v158                       // 000000007DB4: 0B3D3CFF 41800000
	v_mul_f32_e32 v159, v14, v159                              // 000000007DBC: 0B3F3F0E
	v_mul_f32_e32 v159, 0x41800000, v159                       // 000000007DC0: 0B3F3EFF 41800000
	v_mul_f32_dpp v156, v15, v156 row_newbcast:12 row_mask:0xf bank_mask:0xf// 000000007DC8: 0B3938FA FF015C0F
	v_mul_f32_dpp v157, v15, v157 row_newbcast:13 row_mask:0xf bank_mask:0xf// 000000007DD0: 0B3B3AFA FF015D0F
	v_mul_f32_dpp v158, v15, v158 row_newbcast:14 row_mask:0xf bank_mask:0xf// 000000007DD8: 0B3D3CFA FF015E0F
	v_mul_f32_dpp v159, v15, v159 row_newbcast:15 row_mask:0xf bank_mask:0xf// 000000007DE0: 0B3F3EFA FF015F0F
	v_mul_f32_e32 v64, v13, v64                                // 000000007DE8: 0A80810D
	v_mul_f32_e32 v64, 0x41800000, v64                         // 000000007DEC: 0A8080FF 41800000
	v_mul_f32_e32 v65, v13, v65                                // 000000007DF4: 0A82830D
	v_mul_f32_e32 v65, 0x41800000, v65                         // 000000007DF8: 0A8282FF 41800000
	v_mul_f32_e32 v66, v13, v66                                // 000000007E00: 0A84850D
	v_mul_f32_e32 v66, 0x41800000, v66                         // 000000007E04: 0A8484FF 41800000
	v_mul_f32_e32 v67, v13, v67                                // 000000007E0C: 0A86870D
	v_mul_f32_e32 v67, 0x41800000, v67                         // 000000007E10: 0A8686FF 41800000
	v_mul_f32_dpp v64, v44, v64 row_newbcast:0 row_mask:0xf bank_mask:0xf// 000000007E18: 0A8080FA FF01502C
	v_mul_f32_dpp v65, v44, v65 row_newbcast:1 row_mask:0xf bank_mask:0xf// 000000007E20: 0A8282FA FF01512C
	v_mul_f32_dpp v66, v44, v66 row_newbcast:2 row_mask:0xf bank_mask:0xf// 000000007E28: 0A8484FA FF01522C
	v_mul_f32_dpp v67, v44, v67 row_newbcast:3 row_mask:0xf bank_mask:0xf// 000000007E30: 0A8686FA FF01532C
	v_mul_f32_e32 v68, v14, v68                                // 000000007E38: 0A88890E
	v_mul_f32_e32 v68, 0x41800000, v68                         // 000000007E3C: 0A8888FF 41800000
	v_mul_f32_e32 v69, v14, v69                                // 000000007E44: 0A8A8B0E
	v_mul_f32_e32 v69, 0x41800000, v69                         // 000000007E48: 0A8A8AFF 41800000
	v_mul_f32_e32 v70, v14, v70                                // 000000007E50: 0A8C8D0E
	v_mul_f32_e32 v70, 0x41800000, v70                         // 000000007E54: 0A8C8CFF 41800000
	v_mul_f32_e32 v71, v14, v71                                // 000000007E5C: 0A8E8F0E
	v_mul_f32_e32 v71, 0x41800000, v71                         // 000000007E60: 0A8E8EFF 41800000
	v_mul_f32_dpp v68, v44, v68 row_newbcast:0 row_mask:0xf bank_mask:0xf// 000000007E68: 0A8888FA FF01502C
	v_mul_f32_dpp v69, v44, v69 row_newbcast:1 row_mask:0xf bank_mask:0xf// 000000007E70: 0A8A8AFA FF01512C
	v_mul_f32_dpp v70, v44, v70 row_newbcast:2 row_mask:0xf bank_mask:0xf// 000000007E78: 0A8C8CFA FF01522C
	v_mul_f32_dpp v71, v44, v71 row_newbcast:3 row_mask:0xf bank_mask:0xf// 000000007E80: 0A8E8EFA FF01532C
	v_mul_f32_e32 v72, v13, v72                                // 000000007E88: 0A90910D
	v_mul_f32_e32 v72, 0x41800000, v72                         // 000000007E8C: 0A9090FF 41800000
	v_mul_f32_e32 v73, v13, v73                                // 000000007E94: 0A92930D
	v_mul_f32_e32 v73, 0x41800000, v73                         // 000000007E98: 0A9292FF 41800000
	v_mul_f32_e32 v74, v13, v74                                // 000000007EA0: 0A94950D
	v_mul_f32_e32 v74, 0x41800000, v74                         // 000000007EA4: 0A9494FF 41800000
	v_mul_f32_e32 v75, v13, v75                                // 000000007EAC: 0A96970D
	v_mul_f32_e32 v75, 0x41800000, v75                         // 000000007EB0: 0A9696FF 41800000
	v_mul_f32_dpp v72, v44, v72 row_newbcast:4 row_mask:0xf bank_mask:0xf// 000000007EB8: 0A9090FA FF01542C
	v_mul_f32_dpp v73, v44, v73 row_newbcast:5 row_mask:0xf bank_mask:0xf// 000000007EC0: 0A9292FA FF01552C
	v_mul_f32_dpp v74, v44, v74 row_newbcast:6 row_mask:0xf bank_mask:0xf// 000000007EC8: 0A9494FA FF01562C
	v_mul_f32_dpp v75, v44, v75 row_newbcast:7 row_mask:0xf bank_mask:0xf// 000000007ED0: 0A9696FA FF01572C
	v_mul_f32_e32 v76, v14, v76                                // 000000007ED8: 0A98990E
	v_mul_f32_e32 v76, 0x41800000, v76                         // 000000007EDC: 0A9898FF 41800000
	v_mul_f32_e32 v77, v14, v77                                // 000000007EE4: 0A9A9B0E
	v_mul_f32_e32 v77, 0x41800000, v77                         // 000000007EE8: 0A9A9AFF 41800000
	v_mul_f32_e32 v78, v14, v78                                // 000000007EF0: 0A9C9D0E
	v_mul_f32_e32 v78, 0x41800000, v78                         // 000000007EF4: 0A9C9CFF 41800000
	v_mul_f32_e32 v79, v14, v79                                // 000000007EFC: 0A9E9F0E
	v_mul_f32_e32 v79, 0x41800000, v79                         // 000000007F00: 0A9E9EFF 41800000
	v_mul_f32_dpp v76, v44, v76 row_newbcast:4 row_mask:0xf bank_mask:0xf// 000000007F08: 0A9898FA FF01542C
	v_mul_f32_dpp v77, v44, v77 row_newbcast:5 row_mask:0xf bank_mask:0xf// 000000007F10: 0A9A9AFA FF01552C
	v_mul_f32_dpp v78, v44, v78 row_newbcast:6 row_mask:0xf bank_mask:0xf// 000000007F18: 0A9C9CFA FF01562C
	v_mul_f32_dpp v79, v44, v79 row_newbcast:7 row_mask:0xf bank_mask:0xf// 000000007F20: 0A9E9EFA FF01572C
	v_mul_f32_e32 v80, v13, v80                                // 000000007F28: 0AA0A10D
	v_mul_f32_e32 v80, 0x41800000, v80                         // 000000007F2C: 0AA0A0FF 41800000
	v_mul_f32_e32 v81, v13, v81                                // 000000007F34: 0AA2A30D
	v_mul_f32_e32 v81, 0x41800000, v81                         // 000000007F38: 0AA2A2FF 41800000
	v_mul_f32_e32 v82, v13, v82                                // 000000007F40: 0AA4A50D
	v_mul_f32_e32 v82, 0x41800000, v82                         // 000000007F44: 0AA4A4FF 41800000
	v_mul_f32_e32 v83, v13, v83                                // 000000007F4C: 0AA6A70D
	v_mul_f32_e32 v83, 0x41800000, v83                         // 000000007F50: 0AA6A6FF 41800000
	v_mul_f32_dpp v80, v44, v80 row_newbcast:8 row_mask:0xf bank_mask:0xf// 000000007F58: 0AA0A0FA FF01582C
	v_mul_f32_dpp v81, v44, v81 row_newbcast:9 row_mask:0xf bank_mask:0xf// 000000007F60: 0AA2A2FA FF01592C
	v_mul_f32_dpp v82, v44, v82 row_newbcast:10 row_mask:0xf bank_mask:0xf// 000000007F68: 0AA4A4FA FF015A2C
	v_mul_f32_dpp v83, v44, v83 row_newbcast:11 row_mask:0xf bank_mask:0xf// 000000007F70: 0AA6A6FA FF015B2C
	v_mul_f32_e32 v84, v14, v84                                // 000000007F78: 0AA8A90E
	v_mul_f32_e32 v84, 0x41800000, v84                         // 000000007F7C: 0AA8A8FF 41800000
	v_mul_f32_e32 v85, v14, v85                                // 000000007F84: 0AAAAB0E
	v_mul_f32_e32 v85, 0x41800000, v85                         // 000000007F88: 0AAAAAFF 41800000
	v_mul_f32_e32 v86, v14, v86                                // 000000007F90: 0AACAD0E
	v_mul_f32_e32 v86, 0x41800000, v86                         // 000000007F94: 0AACACFF 41800000
	v_mul_f32_e32 v87, v14, v87                                // 000000007F9C: 0AAEAF0E
	v_mul_f32_e32 v87, 0x41800000, v87                         // 000000007FA0: 0AAEAEFF 41800000
	v_mul_f32_dpp v84, v44, v84 row_newbcast:8 row_mask:0xf bank_mask:0xf// 000000007FA8: 0AA8A8FA FF01582C
	v_mul_f32_dpp v85, v44, v85 row_newbcast:9 row_mask:0xf bank_mask:0xf// 000000007FB0: 0AAAAAFA FF01592C
	v_mul_f32_dpp v86, v44, v86 row_newbcast:10 row_mask:0xf bank_mask:0xf// 000000007FB8: 0AACACFA FF015A2C
	v_mul_f32_dpp v87, v44, v87 row_newbcast:11 row_mask:0xf bank_mask:0xf// 000000007FC0: 0AAEAEFA FF015B2C
	v_mul_f32_e32 v88, v13, v88                                // 000000007FC8: 0AB0B10D
	v_mul_f32_e32 v88, 0x41800000, v88                         // 000000007FCC: 0AB0B0FF 41800000
	v_mul_f32_e32 v89, v13, v89                                // 000000007FD4: 0AB2B30D
	v_mul_f32_e32 v89, 0x41800000, v89                         // 000000007FD8: 0AB2B2FF 41800000
	v_mul_f32_e32 v90, v13, v90                                // 000000007FE0: 0AB4B50D
	v_mul_f32_e32 v90, 0x41800000, v90                         // 000000007FE4: 0AB4B4FF 41800000
	v_mul_f32_e32 v91, v13, v91                                // 000000007FEC: 0AB6B70D
	v_mul_f32_e32 v91, 0x41800000, v91                         // 000000007FF0: 0AB6B6FF 41800000
	v_mul_f32_dpp v88, v44, v88 row_newbcast:12 row_mask:0xf bank_mask:0xf// 000000007FF8: 0AB0B0FA FF015C2C
	v_mul_f32_dpp v89, v44, v89 row_newbcast:13 row_mask:0xf bank_mask:0xf// 000000008000: 0AB2B2FA FF015D2C
	v_mul_f32_dpp v90, v44, v90 row_newbcast:14 row_mask:0xf bank_mask:0xf// 000000008008: 0AB4B4FA FF015E2C
	v_mul_f32_dpp v91, v44, v91 row_newbcast:15 row_mask:0xf bank_mask:0xf// 000000008010: 0AB6B6FA FF015F2C
	v_mul_f32_e32 v92, v14, v92                                // 000000008018: 0AB8B90E
	v_mul_f32_e32 v92, 0x41800000, v92                         // 00000000801C: 0AB8B8FF 41800000
	v_mul_f32_e32 v93, v14, v93                                // 000000008024: 0ABABB0E
	v_mul_f32_e32 v93, 0x41800000, v93                         // 000000008028: 0ABABAFF 41800000
	v_mul_f32_e32 v94, v14, v94                                // 000000008030: 0ABCBD0E
	v_mul_f32_e32 v94, 0x41800000, v94                         // 000000008034: 0ABCBCFF 41800000
	v_mul_f32_e32 v95, v14, v95                                // 00000000803C: 0ABEBF0E
	v_mul_f32_e32 v95, 0x41800000, v95                         // 000000008040: 0ABEBEFF 41800000
	v_mul_f32_dpp v92, v44, v92 row_newbcast:12 row_mask:0xf bank_mask:0xf// 000000008048: 0AB8B8FA FF015C2C
	v_mul_f32_dpp v93, v44, v93 row_newbcast:13 row_mask:0xf bank_mask:0xf// 000000008050: 0ABABAFA FF015D2C
	v_mul_f32_dpp v94, v44, v94 row_newbcast:14 row_mask:0xf bank_mask:0xf// 000000008058: 0ABCBCFA FF015E2C
	v_mul_f32_dpp v95, v44, v95 row_newbcast:15 row_mask:0xf bank_mask:0xf// 000000008060: 0ABEBEFA FF015F2C
	s_waitcnt vmcnt(6)                                         // 000000008068: BF8C0F76
	buffer_load_dwordx4 a[32:35], v36, s[12:15], 0 offen       // 00000000806C: E05C1000 80832024
	v_mul_f32_e32 v46, v128, v128                              // 000000008074: 0A5D0180
	v_mul_f32_e32 v47, v129, v129                              // 000000008078: 0A5F0381
	v_mul_f32_e32 v48, v130, v130                              // 00000000807C: 0A610582
	v_mul_f32_e32 v49, v131, v131                              // 000000008080: 0A630783
	v_fma_f32 v46, v46, s77, v1                                // 000000008084: D1CB002E 04049B2E
	v_fma_f32 v47, v47, s77, v1                                // 00000000808C: D1CB002F 04049B2F
	v_fma_f32 v48, v48, s77, v1                                // 000000008094: D1CB0030 04049B30
	v_fma_f32 v49, v49, s77, v1                                // 00000000809C: D1CB0031 04049B31
	v_mul_f32_e32 v46, v46, v128                               // 0000000080A4: 0A5D012E
	v_mul_f32_e32 v47, v47, v129                               // 0000000080A8: 0A5F032F
	v_mul_f32_e32 v48, v48, v130                               // 0000000080AC: 0A610530
	v_mul_f32_e32 v49, v49, v131                               // 0000000080B0: 0A630731
	v_mul_f32_e64 v46, v46, s6                                 // 0000000080B4: D105002E 00000D2E
	v_mul_f32_e64 v47, v47, s6                                 // 0000000080BC: D105002F 00000D2F
	v_mul_f32_e64 v48, v48, s6                                 // 0000000080C4: D1050030 00000D30
	v_mul_f32_e64 v49, v49, s6                                 // 0000000080CC: D1050031 00000D31
	v_exp_f32_e32 v46, v46                                     // 0000000080D4: 7E5C412E
	v_exp_f32_e32 v47, v47                                     // 0000000080D8: 7E5E412F
	v_exp_f32_e32 v48, v48                                     // 0000000080DC: 7E604130
	v_exp_f32_e32 v49, v49                                     // 0000000080E0: 7E624131
	v_add_f32_e64 v46, v46, 1.0                                // 0000000080E4: D101002E 0001E52E
	v_add_f32_e64 v47, v47, 1.0                                // 0000000080EC: D101002F 0001E52F
	v_add_f32_e64 v48, v48, 1.0                                // 0000000080F4: D1010030 0001E530
	v_add_f32_e64 v49, v49, 1.0                                // 0000000080FC: D1010031 0001E531
	v_rcp_f32_e32 v46, v46                                     // 000000008104: 7E5C452E
	v_rcp_f32_e32 v47, v47                                     // 000000008108: 7E5E452F
	v_rcp_f32_e32 v48, v48                                     // 00000000810C: 7E604530
	v_rcp_f32_e32 v49, v49                                     // 000000008110: 7E624531
	v_mul_f32_e32 v128, v128, v46                              // 000000008114: 0B005D80
	v_mul_f32_e32 v129, v129, v47                              // 000000008118: 0B025F81
	v_mul_f32_e32 v130, v130, v48                              // 00000000811C: 0B046182
	v_mul_f32_e32 v131, v131, v49                              // 000000008120: 0B066383
	v_mul_f32_e32 v128, v128, v64                              // 000000008124: 0B008180
	v_mul_f32_e32 v129, v129, v65                              // 000000008128: 0B028381
	v_mul_f32_e32 v130, v130, v66                              // 00000000812C: 0B048582
	v_mul_f32_e32 v131, v131, v67                              // 000000008130: 0B068783
	buffer_load_dwordx4 a[36:39], v37, s[12:15], 0 offen       // 000000008134: E05C1000 80832425
	v_mul_f32_e32 v46, v132, v132                              // 00000000813C: 0A5D0984
	v_mul_f32_e32 v47, v133, v133                              // 000000008140: 0A5F0B85
	v_mul_f32_e32 v48, v134, v134                              // 000000008144: 0A610D86
	v_mul_f32_e32 v49, v135, v135                              // 000000008148: 0A630F87
	v_fma_f32 v46, v46, s77, v1                                // 00000000814C: D1CB002E 04049B2E
	v_fma_f32 v47, v47, s77, v1                                // 000000008154: D1CB002F 04049B2F
	v_fma_f32 v48, v48, s77, v1                                // 00000000815C: D1CB0030 04049B30
	v_fma_f32 v49, v49, s77, v1                                // 000000008164: D1CB0031 04049B31
	v_mul_f32_e32 v46, v46, v132                               // 00000000816C: 0A5D092E
	v_mul_f32_e32 v47, v47, v133                               // 000000008170: 0A5F0B2F
	v_mul_f32_e32 v48, v48, v134                               // 000000008174: 0A610D30
	v_mul_f32_e32 v49, v49, v135                               // 000000008178: 0A630F31
	v_mul_f32_e64 v46, v46, s6                                 // 00000000817C: D105002E 00000D2E
	v_mul_f32_e64 v47, v47, s6                                 // 000000008184: D105002F 00000D2F
	v_mul_f32_e64 v48, v48, s6                                 // 00000000818C: D1050030 00000D30
	v_mul_f32_e64 v49, v49, s6                                 // 000000008194: D1050031 00000D31
	v_exp_f32_e32 v46, v46                                     // 00000000819C: 7E5C412E
	v_exp_f32_e32 v47, v47                                     // 0000000081A0: 7E5E412F
	v_exp_f32_e32 v48, v48                                     // 0000000081A4: 7E604130
	v_exp_f32_e32 v49, v49                                     // 0000000081A8: 7E624131
	v_add_f32_e64 v46, v46, 1.0                                // 0000000081AC: D101002E 0001E52E
	v_add_f32_e64 v47, v47, 1.0                                // 0000000081B4: D101002F 0001E52F
	v_add_f32_e64 v48, v48, 1.0                                // 0000000081BC: D1010030 0001E530
	v_add_f32_e64 v49, v49, 1.0                                // 0000000081C4: D1010031 0001E531
	v_rcp_f32_e32 v46, v46                                     // 0000000081CC: 7E5C452E
	v_rcp_f32_e32 v47, v47                                     // 0000000081D0: 7E5E452F
	v_rcp_f32_e32 v48, v48                                     // 0000000081D4: 7E604530
	v_rcp_f32_e32 v49, v49                                     // 0000000081D8: 7E624531
	v_mul_f32_e32 v132, v132, v46                              // 0000000081DC: 0B085D84
	v_mul_f32_e32 v133, v133, v47                              // 0000000081E0: 0B0A5F85
	v_mul_f32_e32 v134, v134, v48                              // 0000000081E4: 0B0C6186
	v_mul_f32_e32 v135, v135, v49                              // 0000000081E8: 0B0E6387
	v_mul_f32_e32 v132, v132, v68                              // 0000000081EC: 0B088984
	v_mul_f32_e32 v133, v133, v69                              // 0000000081F0: 0B0A8B85
	v_mul_f32_e32 v134, v134, v70                              // 0000000081F4: 0B0C8D86
	v_mul_f32_e32 v135, v135, v71                              // 0000000081F8: 0B0E8F87
	s_waitcnt vmcnt(6)                                         // 0000000081FC: BF8C0F76
	buffer_load_dwordx4 a[40:43], v38, s[12:15], 0 offen       // 000000008200: E05C1000 80832826
	v_mul_f32_e32 v46, v136, v136                              // 000000008208: 0A5D1188
	v_mul_f32_e32 v47, v137, v137                              // 00000000820C: 0A5F1389
	v_mul_f32_e32 v48, v138, v138                              // 000000008210: 0A61158A
	v_mul_f32_e32 v49, v139, v139                              // 000000008214: 0A63178B
	v_fma_f32 v46, v46, s77, v1                                // 000000008218: D1CB002E 04049B2E
	v_fma_f32 v47, v47, s77, v1                                // 000000008220: D1CB002F 04049B2F
	v_fma_f32 v48, v48, s77, v1                                // 000000008228: D1CB0030 04049B30
	v_fma_f32 v49, v49, s77, v1                                // 000000008230: D1CB0031 04049B31
	v_mul_f32_e32 v46, v46, v136                               // 000000008238: 0A5D112E
	v_mul_f32_e32 v47, v47, v137                               // 00000000823C: 0A5F132F
	v_mul_f32_e32 v48, v48, v138                               // 000000008240: 0A611530
	v_mul_f32_e32 v49, v49, v139                               // 000000008244: 0A631731
	v_mul_f32_e64 v46, v46, s6                                 // 000000008248: D105002E 00000D2E
	v_mul_f32_e64 v47, v47, s6                                 // 000000008250: D105002F 00000D2F
	v_mul_f32_e64 v48, v48, s6                                 // 000000008258: D1050030 00000D30
	v_mul_f32_e64 v49, v49, s6                                 // 000000008260: D1050031 00000D31
	v_exp_f32_e32 v46, v46                                     // 000000008268: 7E5C412E
	v_exp_f32_e32 v47, v47                                     // 00000000826C: 7E5E412F
	v_exp_f32_e32 v48, v48                                     // 000000008270: 7E604130
	v_exp_f32_e32 v49, v49                                     // 000000008274: 7E624131
	v_add_f32_e64 v46, v46, 1.0                                // 000000008278: D101002E 0001E52E
	v_add_f32_e64 v47, v47, 1.0                                // 000000008280: D101002F 0001E52F
	v_add_f32_e64 v48, v48, 1.0                                // 000000008288: D1010030 0001E530
	v_add_f32_e64 v49, v49, 1.0                                // 000000008290: D1010031 0001E531
	v_rcp_f32_e32 v46, v46                                     // 000000008298: 7E5C452E
	v_rcp_f32_e32 v47, v47                                     // 00000000829C: 7E5E452F
	v_rcp_f32_e32 v48, v48                                     // 0000000082A0: 7E604530
	v_rcp_f32_e32 v49, v49                                     // 0000000082A4: 7E624531
	v_mul_f32_e32 v136, v136, v46                              // 0000000082A8: 0B105D88
	v_mul_f32_e32 v137, v137, v47                              // 0000000082AC: 0B125F89
	v_mul_f32_e32 v138, v138, v48                              // 0000000082B0: 0B14618A
	v_mul_f32_e32 v139, v139, v49                              // 0000000082B4: 0B16638B
	v_mul_f32_e32 v136, v136, v72                              // 0000000082B8: 0B109188
	v_mul_f32_e32 v137, v137, v73                              // 0000000082BC: 0B129389
	v_mul_f32_e32 v138, v138, v74                              // 0000000082C0: 0B14958A
	v_mul_f32_e32 v139, v139, v75                              // 0000000082C4: 0B16978B
	buffer_load_dwordx4 a[44:47], v39, s[12:15], 0 offen       // 0000000082C8: E05C1000 80832C27
	s_add_u32 s12, s78, s12                                    // 0000000082D0: 800C0C4E
	s_addc_u32 s13, 0, s13                                     // 0000000082D4: 820D0D80
	v_mul_f32_e32 v46, v140, v140                              // 0000000082D8: 0A5D198C
	v_mul_f32_e32 v47, v141, v141                              // 0000000082DC: 0A5F1B8D
	v_mul_f32_e32 v48, v142, v142                              // 0000000082E0: 0A611D8E
	v_mul_f32_e32 v49, v143, v143                              // 0000000082E4: 0A631F8F
	v_fma_f32 v46, v46, s77, v1                                // 0000000082E8: D1CB002E 04049B2E
	v_fma_f32 v47, v47, s77, v1                                // 0000000082F0: D1CB002F 04049B2F
	v_fma_f32 v48, v48, s77, v1                                // 0000000082F8: D1CB0030 04049B30
	v_fma_f32 v49, v49, s77, v1                                // 000000008300: D1CB0031 04049B31
	v_mul_f32_e32 v46, v46, v140                               // 000000008308: 0A5D192E
	v_mul_f32_e32 v47, v47, v141                               // 00000000830C: 0A5F1B2F
	v_mul_f32_e32 v48, v48, v142                               // 000000008310: 0A611D30
	v_mul_f32_e32 v49, v49, v143                               // 000000008314: 0A631F31
	v_mul_f32_e64 v46, v46, s6                                 // 000000008318: D105002E 00000D2E
	v_mul_f32_e64 v47, v47, s6                                 // 000000008320: D105002F 00000D2F
	v_mul_f32_e64 v48, v48, s6                                 // 000000008328: D1050030 00000D30
	v_mul_f32_e64 v49, v49, s6                                 // 000000008330: D1050031 00000D31
	v_exp_f32_e32 v46, v46                                     // 000000008338: 7E5C412E
	v_exp_f32_e32 v47, v47                                     // 00000000833C: 7E5E412F
	v_exp_f32_e32 v48, v48                                     // 000000008340: 7E604130
	v_exp_f32_e32 v49, v49                                     // 000000008344: 7E624131
	v_add_f32_e64 v46, v46, 1.0                                // 000000008348: D101002E 0001E52E
	v_add_f32_e64 v47, v47, 1.0                                // 000000008350: D101002F 0001E52F
	v_add_f32_e64 v48, v48, 1.0                                // 000000008358: D1010030 0001E530
	v_add_f32_e64 v49, v49, 1.0                                // 000000008360: D1010031 0001E531
	v_rcp_f32_e32 v46, v46                                     // 000000008368: 7E5C452E
	v_rcp_f32_e32 v47, v47                                     // 00000000836C: 7E5E452F
	v_rcp_f32_e32 v48, v48                                     // 000000008370: 7E604530
	v_rcp_f32_e32 v49, v49                                     // 000000008374: 7E624531
	v_mul_f32_e32 v140, v140, v46                              // 000000008378: 0B185D8C
	v_mul_f32_e32 v141, v141, v47                              // 00000000837C: 0B1A5F8D
	v_mul_f32_e32 v142, v142, v48                              // 000000008380: 0B1C618E
	v_mul_f32_e32 v143, v143, v49                              // 000000008384: 0B1E638F
	v_mul_f32_e32 v140, v140, v76                              // 000000008388: 0B18998C
	v_mul_f32_e32 v141, v141, v77                              // 00000000838C: 0B1A9B8D
	v_mul_f32_e32 v142, v142, v78                              // 000000008390: 0B1C9D8E
	v_mul_f32_e32 v143, v143, v79                              // 000000008394: 0B1E9F8F
	s_waitcnt vmcnt(6)                                         // 000000008398: BF8C0F76
	buffer_load_dwordx4 a[48:51], v36, s[12:15], 0 offen       // 00000000839C: E05C1000 80833024
	v_mul_f32_e32 v46, v144, v144                              // 0000000083A4: 0A5D2190
	v_mul_f32_e32 v47, v145, v145                              // 0000000083A8: 0A5F2391
	v_mul_f32_e32 v48, v146, v146                              // 0000000083AC: 0A612592
	v_mul_f32_e32 v49, v147, v147                              // 0000000083B0: 0A632793
	v_fma_f32 v46, v46, s77, v1                                // 0000000083B4: D1CB002E 04049B2E
	v_fma_f32 v47, v47, s77, v1                                // 0000000083BC: D1CB002F 04049B2F
	v_fma_f32 v48, v48, s77, v1                                // 0000000083C4: D1CB0030 04049B30
	v_fma_f32 v49, v49, s77, v1                                // 0000000083CC: D1CB0031 04049B31
	v_mul_f32_e32 v46, v46, v144                               // 0000000083D4: 0A5D212E
	v_mul_f32_e32 v47, v47, v145                               // 0000000083D8: 0A5F232F
	v_mul_f32_e32 v48, v48, v146                               // 0000000083DC: 0A612530
	v_mul_f32_e32 v49, v49, v147                               // 0000000083E0: 0A632731
	v_mul_f32_e64 v46, v46, s6                                 // 0000000083E4: D105002E 00000D2E
	v_mul_f32_e64 v47, v47, s6                                 // 0000000083EC: D105002F 00000D2F
	v_mul_f32_e64 v48, v48, s6                                 // 0000000083F4: D1050030 00000D30
	v_mul_f32_e64 v49, v49, s6                                 // 0000000083FC: D1050031 00000D31
	v_exp_f32_e32 v46, v46                                     // 000000008404: 7E5C412E
	v_exp_f32_e32 v47, v47                                     // 000000008408: 7E5E412F
	v_exp_f32_e32 v48, v48                                     // 00000000840C: 7E604130
	v_exp_f32_e32 v49, v49                                     // 000000008410: 7E624131
	v_add_f32_e64 v46, v46, 1.0                                // 000000008414: D101002E 0001E52E
	v_add_f32_e64 v47, v47, 1.0                                // 00000000841C: D101002F 0001E52F
	v_add_f32_e64 v48, v48, 1.0                                // 000000008424: D1010030 0001E530
	v_add_f32_e64 v49, v49, 1.0                                // 00000000842C: D1010031 0001E531
	v_rcp_f32_e32 v46, v46                                     // 000000008434: 7E5C452E
	v_rcp_f32_e32 v47, v47                                     // 000000008438: 7E5E452F
	v_rcp_f32_e32 v48, v48                                     // 00000000843C: 7E604530
	v_rcp_f32_e32 v49, v49                                     // 000000008440: 7E624531
	v_mul_f32_e32 v144, v144, v46                              // 000000008444: 0B205D90
	v_mul_f32_e32 v145, v145, v47                              // 000000008448: 0B225F91
	v_mul_f32_e32 v146, v146, v48                              // 00000000844C: 0B246192
	v_mul_f32_e32 v147, v147, v49                              // 000000008450: 0B266393
	v_mul_f32_e32 v144, v144, v80                              // 000000008454: 0B20A190
	v_mul_f32_e32 v145, v145, v81                              // 000000008458: 0B22A391
	v_mul_f32_e32 v146, v146, v82                              // 00000000845C: 0B24A592
	v_mul_f32_e32 v147, v147, v83                              // 000000008460: 0B26A793
	buffer_load_dwordx4 a[52:55], v37, s[12:15], 0 offen       // 000000008464: E05C1000 80833425
	v_mul_f32_e32 v46, v148, v148                              // 00000000846C: 0A5D2994
	v_mul_f32_e32 v47, v149, v149                              // 000000008470: 0A5F2B95
	v_mul_f32_e32 v48, v150, v150                              // 000000008474: 0A612D96
	v_mul_f32_e32 v49, v151, v151                              // 000000008478: 0A632F97
	v_fma_f32 v46, v46, s77, v1                                // 00000000847C: D1CB002E 04049B2E
	v_fma_f32 v47, v47, s77, v1                                // 000000008484: D1CB002F 04049B2F
	v_fma_f32 v48, v48, s77, v1                                // 00000000848C: D1CB0030 04049B30
	v_fma_f32 v49, v49, s77, v1                                // 000000008494: D1CB0031 04049B31
	v_mul_f32_e32 v46, v46, v148                               // 00000000849C: 0A5D292E
	v_mul_f32_e32 v47, v47, v149                               // 0000000084A0: 0A5F2B2F
	v_mul_f32_e32 v48, v48, v150                               // 0000000084A4: 0A612D30
	v_mul_f32_e32 v49, v49, v151                               // 0000000084A8: 0A632F31
	v_mul_f32_e64 v46, v46, s6                                 // 0000000084AC: D105002E 00000D2E
	v_mul_f32_e64 v47, v47, s6                                 // 0000000084B4: D105002F 00000D2F
	v_mul_f32_e64 v48, v48, s6                                 // 0000000084BC: D1050030 00000D30
	v_mul_f32_e64 v49, v49, s6                                 // 0000000084C4: D1050031 00000D31
	v_exp_f32_e32 v46, v46                                     // 0000000084CC: 7E5C412E
	v_exp_f32_e32 v47, v47                                     // 0000000084D0: 7E5E412F
	v_exp_f32_e32 v48, v48                                     // 0000000084D4: 7E604130
	v_exp_f32_e32 v49, v49                                     // 0000000084D8: 7E624131
	v_add_f32_e64 v46, v46, 1.0                                // 0000000084DC: D101002E 0001E52E
	v_add_f32_e64 v47, v47, 1.0                                // 0000000084E4: D101002F 0001E52F
	v_add_f32_e64 v48, v48, 1.0                                // 0000000084EC: D1010030 0001E530
	v_add_f32_e64 v49, v49, 1.0                                // 0000000084F4: D1010031 0001E531
	v_rcp_f32_e32 v46, v46                                     // 0000000084FC: 7E5C452E
	v_rcp_f32_e32 v47, v47                                     // 000000008500: 7E5E452F
	v_rcp_f32_e32 v48, v48                                     // 000000008504: 7E604530
	v_rcp_f32_e32 v49, v49                                     // 000000008508: 7E624531
	v_mul_f32_e32 v148, v148, v46                              // 00000000850C: 0B285D94
	v_mul_f32_e32 v149, v149, v47                              // 000000008510: 0B2A5F95
	v_mul_f32_e32 v150, v150, v48                              // 000000008514: 0B2C6196
	v_mul_f32_e32 v151, v151, v49                              // 000000008518: 0B2E6397
	v_mul_f32_e32 v148, v148, v84                              // 00000000851C: 0B28A994
	v_mul_f32_e32 v149, v149, v85                              // 000000008520: 0B2AAB95
	v_mul_f32_e32 v150, v150, v86                              // 000000008524: 0B2CAD96
	v_mul_f32_e32 v151, v151, v87                              // 000000008528: 0B2EAF97
	s_waitcnt vmcnt(6)                                         // 00000000852C: BF8C0F76
	buffer_load_dwordx4 a[56:59], v38, s[12:15], 0 offen       // 000000008530: E05C1000 80833826
	v_mul_f32_e32 v46, v152, v152                              // 000000008538: 0A5D3198
	v_mul_f32_e32 v47, v153, v153                              // 00000000853C: 0A5F3399
	v_mul_f32_e32 v48, v154, v154                              // 000000008540: 0A61359A
	v_mul_f32_e32 v49, v155, v155                              // 000000008544: 0A63379B
	v_fma_f32 v46, v46, s77, v1                                // 000000008548: D1CB002E 04049B2E
	v_fma_f32 v47, v47, s77, v1                                // 000000008550: D1CB002F 04049B2F
	v_fma_f32 v48, v48, s77, v1                                // 000000008558: D1CB0030 04049B30
	v_fma_f32 v49, v49, s77, v1                                // 000000008560: D1CB0031 04049B31
	v_mul_f32_e32 v46, v46, v152                               // 000000008568: 0A5D312E
	v_mul_f32_e32 v47, v47, v153                               // 00000000856C: 0A5F332F
	v_mul_f32_e32 v48, v48, v154                               // 000000008570: 0A613530
	v_mul_f32_e32 v49, v49, v155                               // 000000008574: 0A633731
	v_mul_f32_e64 v46, v46, s6                                 // 000000008578: D105002E 00000D2E
	v_mul_f32_e64 v47, v47, s6                                 // 000000008580: D105002F 00000D2F
	v_mul_f32_e64 v48, v48, s6                                 // 000000008588: D1050030 00000D30
	v_mul_f32_e64 v49, v49, s6                                 // 000000008590: D1050031 00000D31
	v_exp_f32_e32 v46, v46                                     // 000000008598: 7E5C412E
	v_exp_f32_e32 v47, v47                                     // 00000000859C: 7E5E412F
	v_exp_f32_e32 v48, v48                                     // 0000000085A0: 7E604130
	v_exp_f32_e32 v49, v49                                     // 0000000085A4: 7E624131
	v_add_f32_e64 v46, v46, 1.0                                // 0000000085A8: D101002E 0001E52E
	v_add_f32_e64 v47, v47, 1.0                                // 0000000085B0: D101002F 0001E52F
	v_add_f32_e64 v48, v48, 1.0                                // 0000000085B8: D1010030 0001E530
	v_add_f32_e64 v49, v49, 1.0                                // 0000000085C0: D1010031 0001E531
	v_rcp_f32_e32 v46, v46                                     // 0000000085C8: 7E5C452E
	v_rcp_f32_e32 v47, v47                                     // 0000000085CC: 7E5E452F
	v_rcp_f32_e32 v48, v48                                     // 0000000085D0: 7E604530
	v_rcp_f32_e32 v49, v49                                     // 0000000085D4: 7E624531
	v_mul_f32_e32 v152, v152, v46                              // 0000000085D8: 0B305D98
	v_mul_f32_e32 v153, v153, v47                              // 0000000085DC: 0B325F99
	v_mul_f32_e32 v154, v154, v48                              // 0000000085E0: 0B34619A
	v_mul_f32_e32 v155, v155, v49                              // 0000000085E4: 0B36639B
	v_mul_f32_e32 v152, v152, v88                              // 0000000085E8: 0B30B198
	v_mul_f32_e32 v153, v153, v89                              // 0000000085EC: 0B32B399
	v_mul_f32_e32 v154, v154, v90                              // 0000000085F0: 0B34B59A
	v_mul_f32_e32 v155, v155, v91                              // 0000000085F4: 0B36B79B
	buffer_load_dwordx4 a[60:63], v39, s[12:15], 0 offen       // 0000000085F8: E05C1000 80833C27
	v_mul_f32_e32 v46, v156, v156                              // 000000008600: 0A5D399C
	v_mul_f32_e32 v47, v157, v157                              // 000000008604: 0A5F3B9D
	v_mul_f32_e32 v48, v158, v158                              // 000000008608: 0A613D9E
	v_mul_f32_e32 v49, v159, v159                              // 00000000860C: 0A633F9F
	v_fma_f32 v46, v46, s77, v1                                // 000000008610: D1CB002E 04049B2E
	v_fma_f32 v47, v47, s77, v1                                // 000000008618: D1CB002F 04049B2F
	v_fma_f32 v48, v48, s77, v1                                // 000000008620: D1CB0030 04049B30
	v_fma_f32 v49, v49, s77, v1                                // 000000008628: D1CB0031 04049B31
	v_mul_f32_e32 v46, v46, v156                               // 000000008630: 0A5D392E
	v_mul_f32_e32 v47, v47, v157                               // 000000008634: 0A5F3B2F
	v_mul_f32_e32 v48, v48, v158                               // 000000008638: 0A613D30
	v_mul_f32_e32 v49, v49, v159                               // 00000000863C: 0A633F31
	v_mul_f32_e64 v46, v46, s6                                 // 000000008640: D105002E 00000D2E
	v_mul_f32_e64 v47, v47, s6                                 // 000000008648: D105002F 00000D2F
	v_mul_f32_e64 v48, v48, s6                                 // 000000008650: D1050030 00000D30
	v_mul_f32_e64 v49, v49, s6                                 // 000000008658: D1050031 00000D31
	v_exp_f32_e32 v46, v46                                     // 000000008660: 7E5C412E
	v_exp_f32_e32 v47, v47                                     // 000000008664: 7E5E412F
	v_exp_f32_e32 v48, v48                                     // 000000008668: 7E604130
	v_exp_f32_e32 v49, v49                                     // 00000000866C: 7E624131
	v_add_f32_e64 v46, v46, 1.0                                // 000000008670: D101002E 0001E52E
	v_add_f32_e64 v47, v47, 1.0                                // 000000008678: D101002F 0001E52F
	v_add_f32_e64 v48, v48, 1.0                                // 000000008680: D1010030 0001E530
	v_add_f32_e64 v49, v49, 1.0                                // 000000008688: D1010031 0001E531
	v_rcp_f32_e32 v46, v46                                     // 000000008690: 7E5C452E
	v_rcp_f32_e32 v47, v47                                     // 000000008694: 7E5E452F
	v_rcp_f32_e32 v48, v48                                     // 000000008698: 7E604530
	v_rcp_f32_e32 v49, v49                                     // 00000000869C: 7E624531
	v_mul_f32_e32 v156, v156, v46                              // 0000000086A0: 0B385D9C
	v_mul_f32_e32 v157, v157, v47                              // 0000000086A4: 0B3A5F9D
	v_mul_f32_e32 v158, v158, v48                              // 0000000086A8: 0B3C619E
	v_mul_f32_e32 v159, v159, v49                              // 0000000086AC: 0B3E639F
	v_mul_f32_e32 v156, v156, v92                              // 0000000086B0: 0B38B99C
	v_mul_f32_e32 v157, v157, v93                              // 0000000086B4: 0B3ABB9D
	v_mul_f32_e32 v158, v158, v94                              // 0000000086B8: 0B3CBD9E
	v_mul_f32_e32 v159, v159, v95                              // 0000000086BC: 0B3EBF9F
	v_lshlrev_b32_e32 v46, 2, v0                               // 0000000086C0: 245C0082
	s_mul_i32 s60, s82, s71                                    // 0000000086C4: 923C4752
	v_add_u32_e64 v80, v46, s60                                // 0000000086C8: D1340050 0000792E
	v_mov_b32_e32 v81, 0                                       // 0000000086D0: 7EA20280
	s_mul_i32 s60, s83, s71                                    // 0000000086D4: 923C4753
	v_add_u32_e64 v82, v46, s60                                // 0000000086D8: D1340052 0000792E
	v_mov_b32_e32 v83, 0                                       // 0000000086E0: 7EA60280
	s_mul_i32 s60, s84, s71                                    // 0000000086E4: 923C4754
	v_add_u32_e64 v84, v46, s60                                // 0000000086E8: D1340054 0000792E
	v_mov_b32_e32 v85, 0                                       // 0000000086F0: 7EAA0280
	s_mul_i32 s60, s85, s71                                    // 0000000086F4: 923C4755
	v_add_u32_e64 v86, v46, s60                                // 0000000086F8: D1340056 0000792E
	v_mov_b32_e32 v87, 0                                       // 000000008700: 7EAE0280
	s_mul_i32 s60, s86, s71                                    // 000000008704: 923C4756
	v_add_u32_e64 v88, v46, s60                                // 000000008708: D1340058 0000792E
	v_mov_b32_e32 v89, 0                                       // 000000008710: 7EB20280
	s_mul_i32 s60, s87, s71                                    // 000000008714: 923C4757
	v_add_u32_e64 v90, v46, s60                                // 000000008718: D134005A 0000792E
	v_mov_b32_e32 v91, 0                                       // 000000008720: 7EB60280
	s_mul_i32 s60, s88, s71                                    // 000000008724: 923C4758
	v_add_u32_e64 v92, v46, s60                                // 000000008728: D134005C 0000792E
	v_mov_b32_e32 v93, 0                                       // 000000008730: 7EBA0280
	s_mul_i32 s60, s89, s71                                    // 000000008734: 923C4759
	v_add_u32_e64 v94, v46, s60                                // 000000008738: D134005E 0000792E
	v_mov_b32_e32 v95, 0                                       // 000000008740: 7EBE0280
	buffer_load_dword v11, v5, s[16:19], 0 offen               // 000000008744: E0501000 80040B05
	v_mov_b32_e32 v20, 0x358637bd                              // 00000000874C: 7E2802FF 358637BD
	v_mov_b32_e32 v21, 0x358637bd                              // 000000008754: 7E2A02FF 358637BD
	v_max3_f32 v20, |v128|, |v129|, v20                        // 00000000875C: D1D30314 04530380
	v_max3_f32 v20, |v130|, |v131|, v20                        // 000000008764: D1D30314 04530782
	v_max3_f32 v21, |v132|, |v133|, v21                        // 00000000876C: D1D30315 04570B84
	v_max3_f32 v21, |v134|, |v135|, v21                        // 000000008774: D1D30315 04570F86
	v_max3_f32 v20, |v136|, |v137|, v20                        // 00000000877C: D1D30314 04531388
	v_max3_f32 v20, |v138|, |v139|, v20                        // 000000008784: D1D30314 0453178A
	v_max3_f32 v21, |v140|, |v141|, v21                        // 00000000878C: D1D30315 04571B8C
	v_max3_f32 v21, |v142|, |v143|, v21                        // 000000008794: D1D30315 04571F8E
	v_max3_f32 v20, |v144|, |v145|, v20                        // 00000000879C: D1D30314 04532390
	v_max3_f32 v20, |v146|, |v147|, v20                        // 0000000087A4: D1D30314 04532792
	v_max3_f32 v21, |v148|, |v149|, v21                        // 0000000087AC: D1D30315 04572B94
	v_max3_f32 v21, |v150|, |v151|, v21                        // 0000000087B4: D1D30315 04572F96
	v_max3_f32 v20, |v152|, |v153|, v20                        // 0000000087BC: D1D30314 04533398
	v_max3_f32 v20, |v154|, |v155|, v20                        // 0000000087C4: D1D30314 0453379A
	v_max3_f32 v21, |v156|, |v157|, v21                        // 0000000087CC: D1D30315 04573B9C
	v_max3_f32 v21, |v158|, |v159|, v21                        // 0000000087D4: D1D30315 04573F9E
	v_lshlrev_b32_e32 v46, 3, v0                               // 0000000087DC: 245C0083
	s_mul_i32 s60, 0x200, s7                                   // 0000000087E0: 923C07FF 00000200
	v_add_u32_e32 v46, s60, v46                                // 0000000087E8: 685C5C3C
	ds_write_b64 v46, v[20:21] offset:16640                    // 0000000087EC: D89A4100 0000142E
	s_waitcnt lgkmcnt(0)                                       // 0000000087F4: BF8CC07F
	s_barrier                                                  // 0000000087F8: BF8A0000
	v_and_b32_e32 v46, 15, v0                                  // 0000000087FC: 265C008F
	v_lshlrev_b32_e32 v46, 3, v46                              // 000000008800: 245C5C83
	ds_read_b64 v[96:97], v46 offset:16640                     // 000000008804: D8EC4100 6000002E
	ds_read_b64 v[98:99], v46 offset:16768                     // 00000000880C: D8EC4180 6200002E
	ds_read_b64 v[100:101], v46 offset:16896                   // 000000008814: D8EC4200 6400002E
	ds_read_b64 v[102:103], v46 offset:17024                   // 00000000881C: D8EC4280 6600002E
	ds_read_b64 v[104:105], v46 offset:17152                   // 000000008824: D8EC4300 6800002E
	ds_read_b64 v[106:107], v46 offset:17280                   // 00000000882C: D8EC4380 6A00002E
	ds_read_b64 v[108:109], v46 offset:17408                   // 000000008834: D8EC4400 6C00002E
	ds_read_b64 v[110:111], v46 offset:17536                   // 00000000883C: D8EC4480 6E00002E
	ds_read_b64 v[112:113], v46 offset:17664                   // 000000008844: D8EC4500 7000002E
	ds_read_b64 v[114:115], v46 offset:17792                   // 00000000884C: D8EC4580 7200002E
	ds_read_b64 v[116:117], v46 offset:17920                   // 000000008854: D8EC4600 7400002E
	ds_read_b64 v[118:119], v46 offset:18048                   // 00000000885C: D8EC4680 7600002E
	ds_read_b64 v[120:121], v46 offset:18176                   // 000000008864: D8EC4700 7800002E
	ds_read_b64 v[122:123], v46 offset:18304                   // 00000000886C: D8EC4780 7A00002E
	ds_read_b64 v[124:125], v46 offset:18432                   // 000000008874: D8EC4800 7C00002E
	ds_read_b64 v[126:127], v46 offset:18560                   // 00000000887C: D8EC4880 7E00002E
	s_waitcnt lgkmcnt(0)                                       // 000000008884: BF8CC07F
	v_max3_f32 v20, |v96|, |v98|, v20                          // 000000008888: D1D30314 0452C560
	v_max3_f32 v21, |v97|, |v99|, v21                          // 000000008890: D1D30315 0456C761
	v_max3_f32 v20, |v100|, |v102|, v20                        // 000000008898: D1D30314 0452CD64
	v_max3_f32 v21, |v101|, |v103|, v21                        // 0000000088A0: D1D30315 0456CF65
	v_max3_f32 v20, |v104|, |v106|, v20                        // 0000000088A8: D1D30314 0452D568
	v_max3_f32 v21, |v105|, |v107|, v21                        // 0000000088B0: D1D30315 0456D769
	v_max3_f32 v20, |v108|, |v110|, v20                        // 0000000088B8: D1D30314 0452DD6C
	v_max3_f32 v21, |v109|, |v111|, v21                        // 0000000088C0: D1D30315 0456DF6D
	v_max3_f32 v20, |v112|, |v114|, v20                        // 0000000088C8: D1D30314 0452E570
	v_max3_f32 v21, |v113|, |v115|, v21                        // 0000000088D0: D1D30315 0456E771
	v_max3_f32 v20, |v116|, |v118|, v20                        // 0000000088D8: D1D30314 0452ED74
	v_max3_f32 v21, |v117|, |v119|, v21                        // 0000000088E0: D1D30315 0456EF75
	v_max3_f32 v20, |v120|, |v122|, v20                        // 0000000088E8: D1D30314 0452F578
	v_max3_f32 v21, |v121|, |v123|, v21                        // 0000000088F0: D1D30315 0456F779
	v_max3_f32 v20, |v124|, |v126|, v20                        // 0000000088F8: D1D30314 0452FD7C
	v_max3_f32 v21, |v125|, |v127|, v21                        // 000000008900: D1D30315 0456FF7D
	v_rcp_f32_e32 v20, v20                                     // 000000008908: 7E284514
	v_rcp_f32_e32 v21, v21                                     // 00000000890C: 7E2A4515
	v_mov_b32_e32 v46, 0x43700000                              // 000000008910: 7E5C02FF 43700000
	v_mul_f32_e32 v20, v46, v20                                // 000000008918: 0A28292E
	v_mul_f32_e32 v21, v46, v21                                // 00000000891C: 0A2A2B2E
	v_mul_f32_e32 v128, v20, v128                              // 000000008920: 0B010114
	v_mul_f32_e32 v129, v20, v129                              // 000000008924: 0B030314
	v_mul_f32_e32 v130, v20, v130                              // 000000008928: 0B050514
	v_mul_f32_e32 v131, v20, v131                              // 00000000892C: 0B070714
	v_cvt_pk_fp8_f32 v128, v128, v129                          // 000000008930: D2A20080 00030380
	v_cvt_pk_fp8_f32 v128, v130, v131 op_sel:[0,0,1]           // 000000008938: D2A24080 00030782
	v_mul_f32_e32 v132, v21, v132                              // 000000008940: 0B090915
	v_mul_f32_e32 v133, v21, v133                              // 000000008944: 0B0B0B15
	v_mul_f32_e32 v134, v21, v134                              // 000000008948: 0B0D0D15
	v_mul_f32_e32 v135, v21, v135                              // 00000000894C: 0B0F0F15
	v_cvt_pk_fp8_f32 v129, v132, v133                          // 000000008950: D2A20081 00030B84
	v_cvt_pk_fp8_f32 v129, v134, v135 op_sel:[0,0,1]           // 000000008958: D2A24081 00030F86
	v_mul_f32_e32 v136, v20, v136                              // 000000008960: 0B111114
	v_mul_f32_e32 v137, v20, v137                              // 000000008964: 0B131314
	v_mul_f32_e32 v138, v20, v138                              // 000000008968: 0B151514
	v_mul_f32_e32 v139, v20, v139                              // 00000000896C: 0B171714
	v_cvt_pk_fp8_f32 v130, v136, v137                          // 000000008970: D2A20082 00031388
	v_cvt_pk_fp8_f32 v130, v138, v139 op_sel:[0,0,1]           // 000000008978: D2A24082 0003178A
	v_mul_f32_e32 v140, v21, v140                              // 000000008980: 0B191915
	v_mul_f32_e32 v141, v21, v141                              // 000000008984: 0B1B1B15
	v_mul_f32_e32 v142, v21, v142                              // 000000008988: 0B1D1D15
	v_mul_f32_e32 v143, v21, v143                              // 00000000898C: 0B1F1F15
	v_cvt_pk_fp8_f32 v131, v140, v141                          // 000000008990: D2A20083 00031B8C
	v_cvt_pk_fp8_f32 v131, v142, v143 op_sel:[0,0,1]           // 000000008998: D2A24083 00031F8E
	v_mul_f32_e32 v144, v20, v144                              // 0000000089A0: 0B212114
	v_mul_f32_e32 v145, v20, v145                              // 0000000089A4: 0B232314
	v_mul_f32_e32 v146, v20, v146                              // 0000000089A8: 0B252514
	v_mul_f32_e32 v147, v20, v147                              // 0000000089AC: 0B272714
	v_cvt_pk_fp8_f32 v132, v144, v145                          // 0000000089B0: D2A20084 00032390
	v_cvt_pk_fp8_f32 v132, v146, v147 op_sel:[0,0,1]           // 0000000089B8: D2A24084 00032792
	v_mul_f32_e32 v148, v21, v148                              // 0000000089C0: 0B292915
	v_mul_f32_e32 v149, v21, v149                              // 0000000089C4: 0B2B2B15
	v_mul_f32_e32 v150, v21, v150                              // 0000000089C8: 0B2D2D15
	v_mul_f32_e32 v151, v21, v151                              // 0000000089CC: 0B2F2F15
	v_cvt_pk_fp8_f32 v133, v148, v149                          // 0000000089D0: D2A20085 00032B94
	v_cvt_pk_fp8_f32 v133, v150, v151 op_sel:[0,0,1]           // 0000000089D8: D2A24085 00032F96
	v_mul_f32_e32 v152, v20, v152                              // 0000000089E0: 0B313114
	v_mul_f32_e32 v153, v20, v153                              // 0000000089E4: 0B333314
	v_mul_f32_e32 v154, v20, v154                              // 0000000089E8: 0B353514
	v_mul_f32_e32 v155, v20, v155                              // 0000000089EC: 0B373714
	v_cvt_pk_fp8_f32 v134, v152, v153                          // 0000000089F0: D2A20086 00033398
	v_cvt_pk_fp8_f32 v134, v154, v155 op_sel:[0,0,1]           // 0000000089F8: D2A24086 0003379A
	v_mul_f32_e32 v156, v21, v156                              // 000000008A00: 0B393915
	v_mul_f32_e32 v157, v21, v157                              // 000000008A04: 0B3B3B15
	v_mul_f32_e32 v158, v21, v158                              // 000000008A08: 0B3D3D15
	v_mul_f32_e32 v159, v21, v159                              // 000000008A0C: 0B3F3F15
	v_cvt_pk_fp8_f32 v135, v156, v157                          // 000000008A10: D2A20087 00033B9C
	v_cvt_pk_fp8_f32 v135, v158, v159 op_sel:[0,0,1]           // 000000008A18: D2A24087 00033F9E
	v_rcp_f32_e32 v22, v20                                     // 000000008A20: 7E2C4514
	v_rcp_f32_e32 v23, v21                                     // 000000008A24: 7E2E4515
	v_lshrrev_b32_e32 v46, 5, v0                               // 000000008A28: 205C0085
	v_lshlrev_b32_e32 v47, 5, v46                              // 000000008A2C: 245E5C85
	v_and_b32_e32 v46, 31, v0                                  // 000000008A30: 265C009F
	v_lshrrev_b32_e32 v48, 4, v46                              // 000000008A34: 20605C84
	v_add_u32_e32 v47, v48, v47                                // 000000008A38: 685E5F30
	v_and_b32_e32 v46, 15, v0                                  // 000000008A3C: 265C008F
	v_lshlrev_b32_e32 v46, 1, v46                              // 000000008A40: 245C5C81
	v_add_u32_e32 v47, v46, v47                                // 000000008A44: 685E5F2E
	v_lshlrev_b32_e32 v46, 2, v47                              // 000000008A48: 245C5E82
	s_mul_i32 s60, 0x100, s7                                   // 000000008A4C: 923C07FF 00000100
	v_add_u32_e64 v46, v46, s60                                // 000000008A54: D134002E 0000792E
	ds_write_b32 v46, v128 offset:18688                        // 000000008A5C: D81A4900 0000802E
	ds_write_b32 v46, v129 offset:22784                        // 000000008A64: D81A5900 0000812E
	ds_write_b32 v46, v130 offset:19712                        // 000000008A6C: D81A4D00 0000822E
	ds_write_b32 v46, v131 offset:23808                        // 000000008A74: D81A5D00 0000832E
	ds_write_b32 v46, v132 offset:20736                        // 000000008A7C: D81A5100 0000842E
	ds_write_b32 v46, v133 offset:24832                        // 000000008A84: D81A6100 0000852E
	ds_write_b32 v46, v134 offset:21760                        // 000000008A8C: D81A5500 0000862E
	ds_write_b32 v46, v135 offset:25856                        // 000000008A94: D81A6500 0000872E
	s_waitcnt lgkmcnt(0)                                       // 000000008A9C: BF8CC07F
	s_barrier                                                  // 000000008AA0: BF8A0000
	v_lshrrev_b32_e32 v46, 4, v0                               // 000000008AA4: 205C0084
	v_lshlrev_b32_e32 v47, 7, v46                              // 000000008AA8: 245E5C87
	v_and_b32_e32 v46, 15, v0                                  // 000000008AAC: 265C008F
	v_lshlrev_b32_e32 v46, 1, v46                              // 000000008AB0: 245C5C81
	v_add_u32_e32 v47, v46, v47                                // 000000008AB4: 685E5F2E
	v_lshlrev_b32_e32 v46, 2, v47                              // 000000008AB8: 245C5E82
	ds_read_b64 v[128:129], v46 offset:18688                   // 000000008ABC: D8EC4900 8000002E
	ds_read_b64 v[130:131], v46 offset:18816                   // 000000008AC4: D8EC4980 8200002E
	ds_read_b64 v[132:133], v46 offset:18944                   // 000000008ACC: D8EC4A00 8400002E
	ds_read_b64 v[134:135], v46 offset:19072                   // 000000008AD4: D8EC4A80 8600002E
	ds_read_b64 v[136:137], v46 offset:20736                   // 000000008ADC: D8EC5100 8800002E
	ds_read_b64 v[138:139], v46 offset:20864                   // 000000008AE4: D8EC5180 8A00002E
	ds_read_b64 v[140:141], v46 offset:20992                   // 000000008AEC: D8EC5200 8C00002E
	ds_read_b64 v[142:143], v46 offset:21120                   // 000000008AF4: D8EC5280 8E00002E
	ds_read_b64 v[144:145], v46 offset:22784                   // 000000008AFC: D8EC5900 9000002E
	ds_read_b64 v[146:147], v46 offset:22912                   // 000000008B04: D8EC5980 9200002E
	ds_read_b64 v[148:149], v46 offset:23040                   // 000000008B0C: D8EC5A00 9400002E
	ds_read_b64 v[150:151], v46 offset:23168                   // 000000008B14: D8EC5A80 9600002E
	ds_read_b64 v[152:153], v46 offset:24832                   // 000000008B1C: D8EC6100 9800002E
	ds_read_b64 v[154:155], v46 offset:24960                   // 000000008B24: D8EC6180 9A00002E
	ds_read_b64 v[156:157], v46 offset:25088                   // 000000008B2C: D8EC6200 9C00002E
	ds_read_b64 v[158:159], v46 offset:25216                   // 000000008B34: D8EC6280 9E00002E
	s_add_u32 s12, s56, s12                                    // 000000008B3C: 800C0C38
	s_addc_u32 s13, 0, s13                                     // 000000008B40: 820D0D80
	s_add_u32 s16, s79, s16                                    // 000000008B44: 8010104F
	s_addc_u32 s17, 0, s17                                     // 000000008B48: 82111180
	s_mov_b32 s80, 0                                           // 000000008B4C: BED00080
	s_waitcnt vmcnt(0) expcnt(0) lgkmcnt(0)                    // 000000008B50: BF8C0000

0000000000008b54 <label_1815>:
	s_waitcnt vmcnt(21)                                        // 000000008B54: BF8C4F75
	s_barrier                                                  // 000000008B58: BF8A0000
	v_accvgpr_read_b32 v46, a32                                // 000000008B5C: D3D8402E 18000120
	v_cvt_off_f32_i4_e32 v47, v46                              // 000000008B64: 7E5E1D2E
	v_cvt_off_f32_i4_sdwa v48, v46 dst_sel:DWORD dst_unused:UNUSED_PRESERVE src0_sel:BYTE_2// 000000008B68: 7E601CF9 0002162E
	v_cvt_pk_fp8_f32 v50, v47, v48                             // 000000008B70: D2A20032 0002612F
	v_cvt_off_f32_i4_sdwa v47, v46 dst_sel:DWORD dst_unused:UNUSED_PRESERVE src0_sel:BYTE_1// 000000008B78: 7E5E1CF9 0001162E
	v_cvt_off_f32_i4_sdwa v48, v46 dst_sel:DWORD dst_unused:UNUSED_PRESERVE src0_sel:BYTE_3// 000000008B80: 7E601CF9 0003162E
	v_cvt_pk_fp8_f32 v51, v47, v48                             // 000000008B88: D2A20033 0002612F
	v_lshrrev_b32_e32 v49, 4, v46                              // 000000008B90: 20625C84
	v_cvt_off_f32_i4_e32 v47, v49                              // 000000008B94: 7E5E1D31
	v_cvt_off_f32_i4_sdwa v48, v49 dst_sel:DWORD dst_unused:UNUSED_PRESERVE src0_sel:BYTE_2// 000000008B98: 7E601CF9 00021631
	v_cvt_pk_fp8_f32 v50, v47, v48 op_sel:[0,0,1]              // 000000008BA0: D2A24032 0002612F
	v_cvt_off_f32_i4_sdwa v47, v49 dst_sel:DWORD dst_unused:UNUSED_PRESERVE src0_sel:BYTE_1// 000000008BA8: 7E5E1CF9 00011631
	v_cvt_off_f32_i4_sdwa v48, v49 dst_sel:DWORD dst_unused:UNUSED_PRESERVE src0_sel:BYTE_3// 000000008BB0: 7E601CF9 00031631
	v_cvt_pk_fp8_f32 v51, v47, v48 op_sel:[0,0,1]              // 000000008BB8: D2A24033 0002612F
	v_accvgpr_write_b32 a0, v50                                // 000000008BC0: D3D94000 18000132
	v_accvgpr_write_b32 a1, v51                                // 000000008BC8: D3D94001 18000133
	s_nop 3                                                    // 000000008BD0: BF800003
	v_mfma_f32_16x16x32_fp8_fp8 v[160:163], a[0:1], v[128:129], 0// 000000008BD4: D3F300A0 0A030100
	v_accvgpr_read_b32 v46, a33                                // 000000008BDC: D3D8402E 18000121
	v_cvt_off_f32_i4_e32 v47, v46                              // 000000008BE4: 7E5E1D2E
	v_cvt_off_f32_i4_sdwa v48, v46 dst_sel:DWORD dst_unused:UNUSED_PRESERVE src0_sel:BYTE_2// 000000008BE8: 7E601CF9 0002162E
	v_cvt_pk_fp8_f32 v50, v47, v48                             // 000000008BF0: D2A20032 0002612F
	v_cvt_off_f32_i4_sdwa v47, v46 dst_sel:DWORD dst_unused:UNUSED_PRESERVE src0_sel:BYTE_1// 000000008BF8: 7E5E1CF9 0001162E
	v_cvt_off_f32_i4_sdwa v48, v46 dst_sel:DWORD dst_unused:UNUSED_PRESERVE src0_sel:BYTE_3// 000000008C00: 7E601CF9 0003162E
	v_cvt_pk_fp8_f32 v51, v47, v48                             // 000000008C08: D2A20033 0002612F
	v_lshrrev_b32_e32 v49, 4, v46                              // 000000008C10: 20625C84
	v_cvt_off_f32_i4_e32 v47, v49                              // 000000008C14: 7E5E1D31
	v_cvt_off_f32_i4_sdwa v48, v49 dst_sel:DWORD dst_unused:UNUSED_PRESERVE src0_sel:BYTE_2// 000000008C18: 7E601CF9 00021631
	v_cvt_pk_fp8_f32 v50, v47, v48 op_sel:[0,0,1]              // 000000008C20: D2A24032 0002612F
	v_cvt_off_f32_i4_sdwa v47, v49 dst_sel:DWORD dst_unused:UNUSED_PRESERVE src0_sel:BYTE_1// 000000008C28: 7E5E1CF9 00011631
	v_cvt_off_f32_i4_sdwa v48, v49 dst_sel:DWORD dst_unused:UNUSED_PRESERVE src0_sel:BYTE_3// 000000008C30: 7E601CF9 00031631
	v_cvt_pk_fp8_f32 v51, v47, v48 op_sel:[0,0,1]              // 000000008C38: D2A24033 0002612F
	v_accvgpr_write_b32 a2, v50                                // 000000008C40: D3D94002 18000132
	v_accvgpr_write_b32 a3, v51                                // 000000008C48: D3D94003 18000133
	s_nop 3                                                    // 000000008C50: BF800003
	v_mfma_f32_16x16x32_fp8_fp8 v[160:163], a[2:3], v[130:131], v[160:163]// 000000008C54: D3F300A0 0E830502
	buffer_load_dwordx4 a[96:99], v36, s[12:15], 0 offen       // 000000008C5C: E05C1000 80836024
	v_accvgpr_read_b32 v46, a34                                // 000000008C64: D3D8402E 18000122
	v_cvt_off_f32_i4_e32 v47, v46                              // 000000008C6C: 7E5E1D2E
	v_cvt_off_f32_i4_sdwa v48, v46 dst_sel:DWORD dst_unused:UNUSED_PRESERVE src0_sel:BYTE_2// 000000008C70: 7E601CF9 0002162E
	v_cvt_pk_fp8_f32 v50, v47, v48                             // 000000008C78: D2A20032 0002612F
	v_cvt_off_f32_i4_sdwa v47, v46 dst_sel:DWORD dst_unused:UNUSED_PRESERVE src0_sel:BYTE_1// 000000008C80: 7E5E1CF9 0001162E
	v_cvt_off_f32_i4_sdwa v48, v46 dst_sel:DWORD dst_unused:UNUSED_PRESERVE src0_sel:BYTE_3// 000000008C88: 7E601CF9 0003162E
	v_cvt_pk_fp8_f32 v51, v47, v48                             // 000000008C90: D2A20033 0002612F
	v_lshrrev_b32_e32 v49, 4, v46                              // 000000008C98: 20625C84
	v_cvt_off_f32_i4_e32 v47, v49                              // 000000008C9C: 7E5E1D31
	v_cvt_off_f32_i4_sdwa v48, v49 dst_sel:DWORD dst_unused:UNUSED_PRESERVE src0_sel:BYTE_2// 000000008CA0: 7E601CF9 00021631
	v_cvt_pk_fp8_f32 v50, v47, v48 op_sel:[0,0,1]              // 000000008CA8: D2A24032 0002612F
	v_cvt_off_f32_i4_sdwa v47, v49 dst_sel:DWORD dst_unused:UNUSED_PRESERVE src0_sel:BYTE_1// 000000008CB0: 7E5E1CF9 00011631
	v_cvt_off_f32_i4_sdwa v48, v49 dst_sel:DWORD dst_unused:UNUSED_PRESERVE src0_sel:BYTE_3// 000000008CB8: 7E601CF9 00031631
	v_cvt_pk_fp8_f32 v51, v47, v48 op_sel:[0,0,1]              // 000000008CC0: D2A24033 0002612F
	v_accvgpr_write_b32 a4, v50                                // 000000008CC8: D3D94004 18000132
	v_accvgpr_write_b32 a5, v51                                // 000000008CD0: D3D94005 18000133
	s_nop 3                                                    // 000000008CD8: BF800003
	v_mfma_f32_16x16x32_fp8_fp8 v[160:163], a[4:5], v[132:133], v[160:163]// 000000008CDC: D3F300A0 0E830904
	v_accvgpr_read_b32 v46, a35                                // 000000008CE4: D3D8402E 18000123
	v_cvt_off_f32_i4_e32 v47, v46                              // 000000008CEC: 7E5E1D2E
	v_cvt_off_f32_i4_sdwa v48, v46 dst_sel:DWORD dst_unused:UNUSED_PRESERVE src0_sel:BYTE_2// 000000008CF0: 7E601CF9 0002162E
	v_cvt_pk_fp8_f32 v50, v47, v48                             // 000000008CF8: D2A20032 0002612F
	v_cvt_off_f32_i4_sdwa v47, v46 dst_sel:DWORD dst_unused:UNUSED_PRESERVE src0_sel:BYTE_1// 000000008D00: 7E5E1CF9 0001162E
	v_cvt_off_f32_i4_sdwa v48, v46 dst_sel:DWORD dst_unused:UNUSED_PRESERVE src0_sel:BYTE_3// 000000008D08: 7E601CF9 0003162E
	v_cvt_pk_fp8_f32 v51, v47, v48                             // 000000008D10: D2A20033 0002612F
	v_lshrrev_b32_e32 v49, 4, v46                              // 000000008D18: 20625C84
	v_cvt_off_f32_i4_e32 v47, v49                              // 000000008D1C: 7E5E1D31
	v_cvt_off_f32_i4_sdwa v48, v49 dst_sel:DWORD dst_unused:UNUSED_PRESERVE src0_sel:BYTE_2// 000000008D20: 7E601CF9 00021631
	v_cvt_pk_fp8_f32 v50, v47, v48 op_sel:[0,0,1]              // 000000008D28: D2A24032 0002612F
	v_cvt_off_f32_i4_sdwa v47, v49 dst_sel:DWORD dst_unused:UNUSED_PRESERVE src0_sel:BYTE_1// 000000008D30: 7E5E1CF9 00011631
	v_cvt_off_f32_i4_sdwa v48, v49 dst_sel:DWORD dst_unused:UNUSED_PRESERVE src0_sel:BYTE_3// 000000008D38: 7E601CF9 00031631
	v_cvt_pk_fp8_f32 v51, v47, v48 op_sel:[0,0,1]              // 000000008D40: D2A24033 0002612F
	v_accvgpr_write_b32 a6, v50                                // 000000008D48: D3D94006 18000132
	v_accvgpr_write_b32 a7, v51                                // 000000008D50: D3D94007 18000133
	s_nop 3                                                    // 000000008D58: BF800003
	v_mfma_f32_16x16x32_fp8_fp8 v[160:163], a[6:7], v[134:135], v[160:163]// 000000008D5C: D3F300A0 0E830D06
	v_mfma_f32_16x16x32_fp8_fp8 v[164:167], a[0:1], v[144:145], 0// 000000008D64: D3F300A4 0A032100
	v_mfma_f32_16x16x32_fp8_fp8 v[164:167], a[2:3], v[146:147], v[164:167]// 000000008D6C: D3F300A4 0E932502
	v_mfma_f32_16x16x32_fp8_fp8 v[164:167], a[4:5], v[148:149], v[164:167]// 000000008D74: D3F300A4 0E932904
	v_mfma_f32_16x16x32_fp8_fp8 v[164:167], a[6:7], v[150:151], v[164:167]// 000000008D7C: D3F300A4 0E932D06
	v_accvgpr_read_b32 v46, a36                                // 000000008D84: D3D8402E 18000124
	v_cvt_off_f32_i4_e32 v47, v46                              // 000000008D8C: 7E5E1D2E
	v_cvt_off_f32_i4_sdwa v48, v46 dst_sel:DWORD dst_unused:UNUSED_PRESERVE src0_sel:BYTE_2// 000000008D90: 7E601CF9 0002162E
	v_cvt_pk_fp8_f32 v50, v47, v48                             // 000000008D98: D2A20032 0002612F
	v_cvt_off_f32_i4_sdwa v47, v46 dst_sel:DWORD dst_unused:UNUSED_PRESERVE src0_sel:BYTE_1// 000000008DA0: 7E5E1CF9 0001162E
	v_cvt_off_f32_i4_sdwa v48, v46 dst_sel:DWORD dst_unused:UNUSED_PRESERVE src0_sel:BYTE_3// 000000008DA8: 7E601CF9 0003162E
	v_cvt_pk_fp8_f32 v51, v47, v48                             // 000000008DB0: D2A20033 0002612F
	v_lshrrev_b32_e32 v49, 4, v46                              // 000000008DB8: 20625C84
	v_cvt_off_f32_i4_e32 v47, v49                              // 000000008DBC: 7E5E1D31
	v_cvt_off_f32_i4_sdwa v48, v49 dst_sel:DWORD dst_unused:UNUSED_PRESERVE src0_sel:BYTE_2// 000000008DC0: 7E601CF9 00021631
	v_cvt_pk_fp8_f32 v50, v47, v48 op_sel:[0,0,1]              // 000000008DC8: D2A24032 0002612F
	v_cvt_off_f32_i4_sdwa v47, v49 dst_sel:DWORD dst_unused:UNUSED_PRESERVE src0_sel:BYTE_1// 000000008DD0: 7E5E1CF9 00011631
	v_cvt_off_f32_i4_sdwa v48, v49 dst_sel:DWORD dst_unused:UNUSED_PRESERVE src0_sel:BYTE_3// 000000008DD8: 7E601CF9 00031631
	v_cvt_pk_fp8_f32 v51, v47, v48 op_sel:[0,0,1]              // 000000008DE0: D2A24033 0002612F
	v_accvgpr_write_b32 a8, v50                                // 000000008DE8: D3D94008 18000132
	v_accvgpr_write_b32 a9, v51                                // 000000008DF0: D3D94009 18000133
	s_nop 3                                                    // 000000008DF8: BF800003
	v_mfma_f32_16x16x32_fp8_fp8 v[168:171], a[8:9], v[128:129], 0// 000000008DFC: D3F300A8 0A030108
	v_accvgpr_read_b32 v46, a37                                // 000000008E04: D3D8402E 18000125
	v_cvt_off_f32_i4_e32 v47, v46                              // 000000008E0C: 7E5E1D2E
	v_cvt_off_f32_i4_sdwa v48, v46 dst_sel:DWORD dst_unused:UNUSED_PRESERVE src0_sel:BYTE_2// 000000008E10: 7E601CF9 0002162E
	v_cvt_pk_fp8_f32 v50, v47, v48                             // 000000008E18: D2A20032 0002612F
	v_cvt_off_f32_i4_sdwa v47, v46 dst_sel:DWORD dst_unused:UNUSED_PRESERVE src0_sel:BYTE_1// 000000008E20: 7E5E1CF9 0001162E
	v_cvt_off_f32_i4_sdwa v48, v46 dst_sel:DWORD dst_unused:UNUSED_PRESERVE src0_sel:BYTE_3// 000000008E28: 7E601CF9 0003162E
	v_cvt_pk_fp8_f32 v51, v47, v48                             // 000000008E30: D2A20033 0002612F
	v_lshrrev_b32_e32 v49, 4, v46                              // 000000008E38: 20625C84
	v_cvt_off_f32_i4_e32 v47, v49                              // 000000008E3C: 7E5E1D31
	v_cvt_off_f32_i4_sdwa v48, v49 dst_sel:DWORD dst_unused:UNUSED_PRESERVE src0_sel:BYTE_2// 000000008E40: 7E601CF9 00021631
	v_cvt_pk_fp8_f32 v50, v47, v48 op_sel:[0,0,1]              // 000000008E48: D2A24032 0002612F
	v_cvt_off_f32_i4_sdwa v47, v49 dst_sel:DWORD dst_unused:UNUSED_PRESERVE src0_sel:BYTE_1// 000000008E50: 7E5E1CF9 00011631
	v_cvt_off_f32_i4_sdwa v48, v49 dst_sel:DWORD dst_unused:UNUSED_PRESERVE src0_sel:BYTE_3// 000000008E58: 7E601CF9 00031631
	v_cvt_pk_fp8_f32 v51, v47, v48 op_sel:[0,0,1]              // 000000008E60: D2A24033 0002612F
	v_accvgpr_write_b32 a10, v50                               // 000000008E68: D3D9400A 18000132
	v_accvgpr_write_b32 a11, v51                               // 000000008E70: D3D9400B 18000133
	s_nop 3                                                    // 000000008E78: BF800003
	v_mfma_f32_16x16x32_fp8_fp8 v[168:171], a[10:11], v[130:131], v[168:171]// 000000008E7C: D3F300A8 0EA3050A
	buffer_load_dwordx4 a[100:103], v37, s[12:15], 0 offen     // 000000008E84: E05C1000 80836425
	v_accvgpr_read_b32 v46, a38                                // 000000008E8C: D3D8402E 18000126
	v_cvt_off_f32_i4_e32 v47, v46                              // 000000008E94: 7E5E1D2E
	v_cvt_off_f32_i4_sdwa v48, v46 dst_sel:DWORD dst_unused:UNUSED_PRESERVE src0_sel:BYTE_2// 000000008E98: 7E601CF9 0002162E
	v_cvt_pk_fp8_f32 v50, v47, v48                             // 000000008EA0: D2A20032 0002612F
	v_cvt_off_f32_i4_sdwa v47, v46 dst_sel:DWORD dst_unused:UNUSED_PRESERVE src0_sel:BYTE_1// 000000008EA8: 7E5E1CF9 0001162E
	v_cvt_off_f32_i4_sdwa v48, v46 dst_sel:DWORD dst_unused:UNUSED_PRESERVE src0_sel:BYTE_3// 000000008EB0: 7E601CF9 0003162E
	v_cvt_pk_fp8_f32 v51, v47, v48                             // 000000008EB8: D2A20033 0002612F
	v_lshrrev_b32_e32 v49, 4, v46                              // 000000008EC0: 20625C84
	v_cvt_off_f32_i4_e32 v47, v49                              // 000000008EC4: 7E5E1D31
	v_cvt_off_f32_i4_sdwa v48, v49 dst_sel:DWORD dst_unused:UNUSED_PRESERVE src0_sel:BYTE_2// 000000008EC8: 7E601CF9 00021631
	v_cvt_pk_fp8_f32 v50, v47, v48 op_sel:[0,0,1]              // 000000008ED0: D2A24032 0002612F
	v_cvt_off_f32_i4_sdwa v47, v49 dst_sel:DWORD dst_unused:UNUSED_PRESERVE src0_sel:BYTE_1// 000000008ED8: 7E5E1CF9 00011631
	v_cvt_off_f32_i4_sdwa v48, v49 dst_sel:DWORD dst_unused:UNUSED_PRESERVE src0_sel:BYTE_3// 000000008EE0: 7E601CF9 00031631
	v_cvt_pk_fp8_f32 v51, v47, v48 op_sel:[0,0,1]              // 000000008EE8: D2A24033 0002612F
	v_accvgpr_write_b32 a12, v50                               // 000000008EF0: D3D9400C 18000132
	v_accvgpr_write_b32 a13, v51                               // 000000008EF8: D3D9400D 18000133
	s_nop 3                                                    // 000000008F00: BF800003
	v_mfma_f32_16x16x32_fp8_fp8 v[168:171], a[12:13], v[132:133], v[168:171]// 000000008F04: D3F300A8 0EA3090C
	v_accvgpr_read_b32 v46, a39                                // 000000008F0C: D3D8402E 18000127
	v_cvt_off_f32_i4_e32 v47, v46                              // 000000008F14: 7E5E1D2E
	v_cvt_off_f32_i4_sdwa v48, v46 dst_sel:DWORD dst_unused:UNUSED_PRESERVE src0_sel:BYTE_2// 000000008F18: 7E601CF9 0002162E
	v_cvt_pk_fp8_f32 v50, v47, v48                             // 000000008F20: D2A20032 0002612F
	v_cvt_off_f32_i4_sdwa v47, v46 dst_sel:DWORD dst_unused:UNUSED_PRESERVE src0_sel:BYTE_1// 000000008F28: 7E5E1CF9 0001162E
	v_cvt_off_f32_i4_sdwa v48, v46 dst_sel:DWORD dst_unused:UNUSED_PRESERVE src0_sel:BYTE_3// 000000008F30: 7E601CF9 0003162E
	v_cvt_pk_fp8_f32 v51, v47, v48                             // 000000008F38: D2A20033 0002612F
	v_lshrrev_b32_e32 v49, 4, v46                              // 000000008F40: 20625C84
	v_cvt_off_f32_i4_e32 v47, v49                              // 000000008F44: 7E5E1D31
	v_cvt_off_f32_i4_sdwa v48, v49 dst_sel:DWORD dst_unused:UNUSED_PRESERVE src0_sel:BYTE_2// 000000008F48: 7E601CF9 00021631
	v_cvt_pk_fp8_f32 v50, v47, v48 op_sel:[0,0,1]              // 000000008F50: D2A24032 0002612F
	v_cvt_off_f32_i4_sdwa v47, v49 dst_sel:DWORD dst_unused:UNUSED_PRESERVE src0_sel:BYTE_1// 000000008F58: 7E5E1CF9 00011631
	v_cvt_off_f32_i4_sdwa v48, v49 dst_sel:DWORD dst_unused:UNUSED_PRESERVE src0_sel:BYTE_3// 000000008F60: 7E601CF9 00031631
	v_cvt_pk_fp8_f32 v51, v47, v48 op_sel:[0,0,1]              // 000000008F68: D2A24033 0002612F
	v_accvgpr_write_b32 a14, v50                               // 000000008F70: D3D9400E 18000132
	v_accvgpr_write_b32 a15, v51                               // 000000008F78: D3D9400F 18000133
	s_nop 3                                                    // 000000008F80: BF800003
	v_mfma_f32_16x16x32_fp8_fp8 v[168:171], a[14:15], v[134:135], v[168:171]// 000000008F84: D3F300A8 0EA30D0E
	v_mfma_f32_16x16x32_fp8_fp8 v[172:175], a[8:9], v[144:145], 0// 000000008F8C: D3F300AC 0A032108
	v_mfma_f32_16x16x32_fp8_fp8 v[172:175], a[10:11], v[146:147], v[172:175]// 000000008F94: D3F300AC 0EB3250A
	v_mfma_f32_16x16x32_fp8_fp8 v[172:175], a[12:13], v[148:149], v[172:175]// 000000008F9C: D3F300AC 0EB3290C
	v_mfma_f32_16x16x32_fp8_fp8 v[172:175], a[14:15], v[150:151], v[172:175]// 000000008FA4: D3F300AC 0EB32D0E
	v_accvgpr_read_b32 v46, a40                                // 000000008FAC: D3D8402E 18000128
	v_cvt_off_f32_i4_e32 v47, v46                              // 000000008FB4: 7E5E1D2E
	v_cvt_off_f32_i4_sdwa v48, v46 dst_sel:DWORD dst_unused:UNUSED_PRESERVE src0_sel:BYTE_2// 000000008FB8: 7E601CF9 0002162E
	v_cvt_pk_fp8_f32 v50, v47, v48                             // 000000008FC0: D2A20032 0002612F
	v_cvt_off_f32_i4_sdwa v47, v46 dst_sel:DWORD dst_unused:UNUSED_PRESERVE src0_sel:BYTE_1// 000000008FC8: 7E5E1CF9 0001162E
	v_cvt_off_f32_i4_sdwa v48, v46 dst_sel:DWORD dst_unused:UNUSED_PRESERVE src0_sel:BYTE_3// 000000008FD0: 7E601CF9 0003162E
	v_cvt_pk_fp8_f32 v51, v47, v48                             // 000000008FD8: D2A20033 0002612F
	v_lshrrev_b32_e32 v49, 4, v46                              // 000000008FE0: 20625C84
	v_cvt_off_f32_i4_e32 v47, v49                              // 000000008FE4: 7E5E1D31
	v_cvt_off_f32_i4_sdwa v48, v49 dst_sel:DWORD dst_unused:UNUSED_PRESERVE src0_sel:BYTE_2// 000000008FE8: 7E601CF9 00021631
	v_cvt_pk_fp8_f32 v50, v47, v48 op_sel:[0,0,1]              // 000000008FF0: D2A24032 0002612F
	v_cvt_off_f32_i4_sdwa v47, v49 dst_sel:DWORD dst_unused:UNUSED_PRESERVE src0_sel:BYTE_1// 000000008FF8: 7E5E1CF9 00011631
	v_cvt_off_f32_i4_sdwa v48, v49 dst_sel:DWORD dst_unused:UNUSED_PRESERVE src0_sel:BYTE_3// 000000009000: 7E601CF9 00031631
	v_cvt_pk_fp8_f32 v51, v47, v48 op_sel:[0,0,1]              // 000000009008: D2A24033 0002612F
	v_accvgpr_write_b32 a16, v50                               // 000000009010: D3D94010 18000132
	v_accvgpr_write_b32 a17, v51                               // 000000009018: D3D94011 18000133
	s_nop 3                                                    // 000000009020: BF800003
	v_mfma_f32_16x16x32_fp8_fp8 v[176:179], a[16:17], v[128:129], 0// 000000009024: D3F300B0 0A030110
	v_accvgpr_read_b32 v46, a41                                // 00000000902C: D3D8402E 18000129
	v_cvt_off_f32_i4_e32 v47, v46                              // 000000009034: 7E5E1D2E
	v_cvt_off_f32_i4_sdwa v48, v46 dst_sel:DWORD dst_unused:UNUSED_PRESERVE src0_sel:BYTE_2// 000000009038: 7E601CF9 0002162E
	v_cvt_pk_fp8_f32 v50, v47, v48                             // 000000009040: D2A20032 0002612F
	v_cvt_off_f32_i4_sdwa v47, v46 dst_sel:DWORD dst_unused:UNUSED_PRESERVE src0_sel:BYTE_1// 000000009048: 7E5E1CF9 0001162E
	v_cvt_off_f32_i4_sdwa v48, v46 dst_sel:DWORD dst_unused:UNUSED_PRESERVE src0_sel:BYTE_3// 000000009050: 7E601CF9 0003162E
	v_cvt_pk_fp8_f32 v51, v47, v48                             // 000000009058: D2A20033 0002612F
	v_lshrrev_b32_e32 v49, 4, v46                              // 000000009060: 20625C84
	v_cvt_off_f32_i4_e32 v47, v49                              // 000000009064: 7E5E1D31
	v_cvt_off_f32_i4_sdwa v48, v49 dst_sel:DWORD dst_unused:UNUSED_PRESERVE src0_sel:BYTE_2// 000000009068: 7E601CF9 00021631
	v_cvt_pk_fp8_f32 v50, v47, v48 op_sel:[0,0,1]              // 000000009070: D2A24032 0002612F
	v_cvt_off_f32_i4_sdwa v47, v49 dst_sel:DWORD dst_unused:UNUSED_PRESERVE src0_sel:BYTE_1// 000000009078: 7E5E1CF9 00011631
	v_cvt_off_f32_i4_sdwa v48, v49 dst_sel:DWORD dst_unused:UNUSED_PRESERVE src0_sel:BYTE_3// 000000009080: 7E601CF9 00031631
	v_cvt_pk_fp8_f32 v51, v47, v48 op_sel:[0,0,1]              // 000000009088: D2A24033 0002612F
	v_accvgpr_write_b32 a18, v50                               // 000000009090: D3D94012 18000132
	v_accvgpr_write_b32 a19, v51                               // 000000009098: D3D94013 18000133
	s_nop 3                                                    // 0000000090A0: BF800003
	v_mfma_f32_16x16x32_fp8_fp8 v[176:179], a[18:19], v[130:131], v[176:179]// 0000000090A4: D3F300B0 0EC30512
	buffer_load_dwordx4 a[104:107], v38, s[12:15], 0 offen     // 0000000090AC: E05C1000 80836826
	v_accvgpr_read_b32 v46, a42                                // 0000000090B4: D3D8402E 1800012A
	v_cvt_off_f32_i4_e32 v47, v46                              // 0000000090BC: 7E5E1D2E
	v_cvt_off_f32_i4_sdwa v48, v46 dst_sel:DWORD dst_unused:UNUSED_PRESERVE src0_sel:BYTE_2// 0000000090C0: 7E601CF9 0002162E
	v_cvt_pk_fp8_f32 v50, v47, v48                             // 0000000090C8: D2A20032 0002612F
	v_cvt_off_f32_i4_sdwa v47, v46 dst_sel:DWORD dst_unused:UNUSED_PRESERVE src0_sel:BYTE_1// 0000000090D0: 7E5E1CF9 0001162E
	v_cvt_off_f32_i4_sdwa v48, v46 dst_sel:DWORD dst_unused:UNUSED_PRESERVE src0_sel:BYTE_3// 0000000090D8: 7E601CF9 0003162E
	v_cvt_pk_fp8_f32 v51, v47, v48                             // 0000000090E0: D2A20033 0002612F
	v_lshrrev_b32_e32 v49, 4, v46                              // 0000000090E8: 20625C84
	v_cvt_off_f32_i4_e32 v47, v49                              // 0000000090EC: 7E5E1D31
	v_cvt_off_f32_i4_sdwa v48, v49 dst_sel:DWORD dst_unused:UNUSED_PRESERVE src0_sel:BYTE_2// 0000000090F0: 7E601CF9 00021631
	v_cvt_pk_fp8_f32 v50, v47, v48 op_sel:[0,0,1]              // 0000000090F8: D2A24032 0002612F
	v_cvt_off_f32_i4_sdwa v47, v49 dst_sel:DWORD dst_unused:UNUSED_PRESERVE src0_sel:BYTE_1// 000000009100: 7E5E1CF9 00011631
	v_cvt_off_f32_i4_sdwa v48, v49 dst_sel:DWORD dst_unused:UNUSED_PRESERVE src0_sel:BYTE_3// 000000009108: 7E601CF9 00031631
	v_cvt_pk_fp8_f32 v51, v47, v48 op_sel:[0,0,1]              // 000000009110: D2A24033 0002612F
	v_accvgpr_write_b32 a20, v50                               // 000000009118: D3D94014 18000132
	v_accvgpr_write_b32 a21, v51                               // 000000009120: D3D94015 18000133
	s_nop 3                                                    // 000000009128: BF800003
	v_mfma_f32_16x16x32_fp8_fp8 v[176:179], a[20:21], v[132:133], v[176:179]// 00000000912C: D3F300B0 0EC30914
	v_accvgpr_read_b32 v46, a43                                // 000000009134: D3D8402E 1800012B
	v_cvt_off_f32_i4_e32 v47, v46                              // 00000000913C: 7E5E1D2E
	v_cvt_off_f32_i4_sdwa v48, v46 dst_sel:DWORD dst_unused:UNUSED_PRESERVE src0_sel:BYTE_2// 000000009140: 7E601CF9 0002162E
	v_cvt_pk_fp8_f32 v50, v47, v48                             // 000000009148: D2A20032 0002612F
	v_cvt_off_f32_i4_sdwa v47, v46 dst_sel:DWORD dst_unused:UNUSED_PRESERVE src0_sel:BYTE_1// 000000009150: 7E5E1CF9 0001162E
	v_cvt_off_f32_i4_sdwa v48, v46 dst_sel:DWORD dst_unused:UNUSED_PRESERVE src0_sel:BYTE_3// 000000009158: 7E601CF9 0003162E
	v_cvt_pk_fp8_f32 v51, v47, v48                             // 000000009160: D2A20033 0002612F
	v_lshrrev_b32_e32 v49, 4, v46                              // 000000009168: 20625C84
	v_cvt_off_f32_i4_e32 v47, v49                              // 00000000916C: 7E5E1D31
	v_cvt_off_f32_i4_sdwa v48, v49 dst_sel:DWORD dst_unused:UNUSED_PRESERVE src0_sel:BYTE_2// 000000009170: 7E601CF9 00021631
	v_cvt_pk_fp8_f32 v50, v47, v48 op_sel:[0,0,1]              // 000000009178: D2A24032 0002612F
	v_cvt_off_f32_i4_sdwa v47, v49 dst_sel:DWORD dst_unused:UNUSED_PRESERVE src0_sel:BYTE_1// 000000009180: 7E5E1CF9 00011631
	v_cvt_off_f32_i4_sdwa v48, v49 dst_sel:DWORD dst_unused:UNUSED_PRESERVE src0_sel:BYTE_3// 000000009188: 7E601CF9 00031631
	v_cvt_pk_fp8_f32 v51, v47, v48 op_sel:[0,0,1]              // 000000009190: D2A24033 0002612F
	v_accvgpr_write_b32 a22, v50                               // 000000009198: D3D94016 18000132
	v_accvgpr_write_b32 a23, v51                               // 0000000091A0: D3D94017 18000133
	s_nop 3                                                    // 0000000091A8: BF800003
	v_mfma_f32_16x16x32_fp8_fp8 v[176:179], a[22:23], v[134:135], v[176:179]// 0000000091AC: D3F300B0 0EC30D16
	buffer_load_dword v12, v5, s[16:19], 0 offen               // 0000000091B4: E0501000 80040C05
	v_mfma_f32_16x16x32_fp8_fp8 v[180:183], a[16:17], v[144:145], 0// 0000000091BC: D3F300B4 0A032110
	v_mfma_f32_16x16x32_fp8_fp8 v[180:183], a[18:19], v[146:147], v[180:183]// 0000000091C4: D3F300B4 0ED32512
	v_mfma_f32_16x16x32_fp8_fp8 v[180:183], a[20:21], v[148:149], v[180:183]// 0000000091CC: D3F300B4 0ED32914
	v_mfma_f32_16x16x32_fp8_fp8 v[180:183], a[22:23], v[150:151], v[180:183]// 0000000091D4: D3F300B4 0ED32D16
	v_accvgpr_read_b32 v46, a44                                // 0000000091DC: D3D8402E 1800012C
	v_cvt_off_f32_i4_e32 v47, v46                              // 0000000091E4: 7E5E1D2E
	v_cvt_off_f32_i4_sdwa v48, v46 dst_sel:DWORD dst_unused:UNUSED_PRESERVE src0_sel:BYTE_2// 0000000091E8: 7E601CF9 0002162E
	v_cvt_pk_fp8_f32 v50, v47, v48                             // 0000000091F0: D2A20032 0002612F
	v_cvt_off_f32_i4_sdwa v47, v46 dst_sel:DWORD dst_unused:UNUSED_PRESERVE src0_sel:BYTE_1// 0000000091F8: 7E5E1CF9 0001162E
	v_cvt_off_f32_i4_sdwa v48, v46 dst_sel:DWORD dst_unused:UNUSED_PRESERVE src0_sel:BYTE_3// 000000009200: 7E601CF9 0003162E
	v_cvt_pk_fp8_f32 v51, v47, v48                             // 000000009208: D2A20033 0002612F
	v_lshrrev_b32_e32 v49, 4, v46                              // 000000009210: 20625C84
	v_cvt_off_f32_i4_e32 v47, v49                              // 000000009214: 7E5E1D31
	v_cvt_off_f32_i4_sdwa v48, v49 dst_sel:DWORD dst_unused:UNUSED_PRESERVE src0_sel:BYTE_2// 000000009218: 7E601CF9 00021631
	v_cvt_pk_fp8_f32 v50, v47, v48 op_sel:[0,0,1]              // 000000009220: D2A24032 0002612F
	v_cvt_off_f32_i4_sdwa v47, v49 dst_sel:DWORD dst_unused:UNUSED_PRESERVE src0_sel:BYTE_1// 000000009228: 7E5E1CF9 00011631
	v_cvt_off_f32_i4_sdwa v48, v49 dst_sel:DWORD dst_unused:UNUSED_PRESERVE src0_sel:BYTE_3// 000000009230: 7E601CF9 00031631
	v_cvt_pk_fp8_f32 v51, v47, v48 op_sel:[0,0,1]              // 000000009238: D2A24033 0002612F
	v_accvgpr_write_b32 a24, v50                               // 000000009240: D3D94018 18000132
	v_accvgpr_write_b32 a25, v51                               // 000000009248: D3D94019 18000133
	s_nop 3                                                    // 000000009250: BF800003
	v_mfma_f32_16x16x32_fp8_fp8 v[184:187], a[24:25], v[128:129], 0// 000000009254: D3F300B8 0A030118
	v_accvgpr_read_b32 v46, a45                                // 00000000925C: D3D8402E 1800012D
	v_cvt_off_f32_i4_e32 v47, v46                              // 000000009264: 7E5E1D2E
	v_cvt_off_f32_i4_sdwa v48, v46 dst_sel:DWORD dst_unused:UNUSED_PRESERVE src0_sel:BYTE_2// 000000009268: 7E601CF9 0002162E
	v_cvt_pk_fp8_f32 v50, v47, v48                             // 000000009270: D2A20032 0002612F
	v_cvt_off_f32_i4_sdwa v47, v46 dst_sel:DWORD dst_unused:UNUSED_PRESERVE src0_sel:BYTE_1// 000000009278: 7E5E1CF9 0001162E
	v_cvt_off_f32_i4_sdwa v48, v46 dst_sel:DWORD dst_unused:UNUSED_PRESERVE src0_sel:BYTE_3// 000000009280: 7E601CF9 0003162E
	v_cvt_pk_fp8_f32 v51, v47, v48                             // 000000009288: D2A20033 0002612F
	v_lshrrev_b32_e32 v49, 4, v46                              // 000000009290: 20625C84
	v_cvt_off_f32_i4_e32 v47, v49                              // 000000009294: 7E5E1D31
	v_cvt_off_f32_i4_sdwa v48, v49 dst_sel:DWORD dst_unused:UNUSED_PRESERVE src0_sel:BYTE_2// 000000009298: 7E601CF9 00021631
	v_cvt_pk_fp8_f32 v50, v47, v48 op_sel:[0,0,1]              // 0000000092A0: D2A24032 0002612F
	v_cvt_off_f32_i4_sdwa v47, v49 dst_sel:DWORD dst_unused:UNUSED_PRESERVE src0_sel:BYTE_1// 0000000092A8: 7E5E1CF9 00011631
	v_cvt_off_f32_i4_sdwa v48, v49 dst_sel:DWORD dst_unused:UNUSED_PRESERVE src0_sel:BYTE_3// 0000000092B0: 7E601CF9 00031631
	v_cvt_pk_fp8_f32 v51, v47, v48 op_sel:[0,0,1]              // 0000000092B8: D2A24033 0002612F
	v_accvgpr_write_b32 a26, v50                               // 0000000092C0: D3D9401A 18000132
	v_accvgpr_write_b32 a27, v51                               // 0000000092C8: D3D9401B 18000133
	s_nop 3                                                    // 0000000092D0: BF800003
	v_mfma_f32_16x16x32_fp8_fp8 v[184:187], a[26:27], v[130:131], v[184:187]// 0000000092D4: D3F300B8 0EE3051A
	buffer_load_dwordx4 a[108:111], v39, s[12:15], 0 offen     // 0000000092DC: E05C1000 80836C27
	s_add_u32 s12, s78, s12                                    // 0000000092E4: 800C0C4E
	s_addc_u32 s13, 0, s13                                     // 0000000092E8: 820D0D80
	v_accvgpr_read_b32 v46, a46                                // 0000000092EC: D3D8402E 1800012E
	v_cvt_off_f32_i4_e32 v47, v46                              // 0000000092F4: 7E5E1D2E
	v_cvt_off_f32_i4_sdwa v48, v46 dst_sel:DWORD dst_unused:UNUSED_PRESERVE src0_sel:BYTE_2// 0000000092F8: 7E601CF9 0002162E
	v_cvt_pk_fp8_f32 v50, v47, v48                             // 000000009300: D2A20032 0002612F
	v_cvt_off_f32_i4_sdwa v47, v46 dst_sel:DWORD dst_unused:UNUSED_PRESERVE src0_sel:BYTE_1// 000000009308: 7E5E1CF9 0001162E
	v_cvt_off_f32_i4_sdwa v48, v46 dst_sel:DWORD dst_unused:UNUSED_PRESERVE src0_sel:BYTE_3// 000000009310: 7E601CF9 0003162E
	v_cvt_pk_fp8_f32 v51, v47, v48                             // 000000009318: D2A20033 0002612F
	v_lshrrev_b32_e32 v49, 4, v46                              // 000000009320: 20625C84
	v_cvt_off_f32_i4_e32 v47, v49                              // 000000009324: 7E5E1D31
	v_cvt_off_f32_i4_sdwa v48, v49 dst_sel:DWORD dst_unused:UNUSED_PRESERVE src0_sel:BYTE_2// 000000009328: 7E601CF9 00021631
	v_cvt_pk_fp8_f32 v50, v47, v48 op_sel:[0,0,1]              // 000000009330: D2A24032 0002612F
	v_cvt_off_f32_i4_sdwa v47, v49 dst_sel:DWORD dst_unused:UNUSED_PRESERVE src0_sel:BYTE_1// 000000009338: 7E5E1CF9 00011631
	v_cvt_off_f32_i4_sdwa v48, v49 dst_sel:DWORD dst_unused:UNUSED_PRESERVE src0_sel:BYTE_3// 000000009340: 7E601CF9 00031631
	v_cvt_pk_fp8_f32 v51, v47, v48 op_sel:[0,0,1]              // 000000009348: D2A24033 0002612F
	v_accvgpr_write_b32 a28, v50                               // 000000009350: D3D9401C 18000132
	v_accvgpr_write_b32 a29, v51                               // 000000009358: D3D9401D 18000133
	s_nop 3                                                    // 000000009360: BF800003
	v_mfma_f32_16x16x32_fp8_fp8 v[184:187], a[28:29], v[132:133], v[184:187]// 000000009364: D3F300B8 0EE3091C
	v_accvgpr_read_b32 v46, a47                                // 00000000936C: D3D8402E 1800012F
	v_cvt_off_f32_i4_e32 v47, v46                              // 000000009374: 7E5E1D2E
	v_cvt_off_f32_i4_sdwa v48, v46 dst_sel:DWORD dst_unused:UNUSED_PRESERVE src0_sel:BYTE_2// 000000009378: 7E601CF9 0002162E
	v_cvt_pk_fp8_f32 v50, v47, v48                             // 000000009380: D2A20032 0002612F
	v_cvt_off_f32_i4_sdwa v47, v46 dst_sel:DWORD dst_unused:UNUSED_PRESERVE src0_sel:BYTE_1// 000000009388: 7E5E1CF9 0001162E
	v_cvt_off_f32_i4_sdwa v48, v46 dst_sel:DWORD dst_unused:UNUSED_PRESERVE src0_sel:BYTE_3// 000000009390: 7E601CF9 0003162E
	v_cvt_pk_fp8_f32 v51, v47, v48                             // 000000009398: D2A20033 0002612F
	v_lshrrev_b32_e32 v49, 4, v46                              // 0000000093A0: 20625C84
	v_cvt_off_f32_i4_e32 v47, v49                              // 0000000093A4: 7E5E1D31
	v_cvt_off_f32_i4_sdwa v48, v49 dst_sel:DWORD dst_unused:UNUSED_PRESERVE src0_sel:BYTE_2// 0000000093A8: 7E601CF9 00021631
	v_cvt_pk_fp8_f32 v50, v47, v48 op_sel:[0,0,1]              // 0000000093B0: D2A24032 0002612F
	v_cvt_off_f32_i4_sdwa v47, v49 dst_sel:DWORD dst_unused:UNUSED_PRESERVE src0_sel:BYTE_1// 0000000093B8: 7E5E1CF9 00011631
	v_cvt_off_f32_i4_sdwa v48, v49 dst_sel:DWORD dst_unused:UNUSED_PRESERVE src0_sel:BYTE_3// 0000000093C0: 7E601CF9 00031631
	v_cvt_pk_fp8_f32 v51, v47, v48 op_sel:[0,0,1]              // 0000000093C8: D2A24033 0002612F
	v_accvgpr_write_b32 a30, v50                               // 0000000093D0: D3D9401E 18000132
	v_accvgpr_write_b32 a31, v51                               // 0000000093D8: D3D9401F 18000133
	s_nop 3                                                    // 0000000093E0: BF800003
	v_mfma_f32_16x16x32_fp8_fp8 v[184:187], a[30:31], v[134:135], v[184:187]// 0000000093E4: D3F300B8 0EE30D1E
	v_mfma_f32_16x16x32_fp8_fp8 v[188:191], a[24:25], v[144:145], 0// 0000000093EC: D3F300BC 0A032118
	v_mfma_f32_16x16x32_fp8_fp8 v[188:191], a[26:27], v[146:147], v[188:191]// 0000000093F4: D3F300BC 0EF3251A
	v_mfma_f32_16x16x32_fp8_fp8 v[188:191], a[28:29], v[148:149], v[188:191]// 0000000093FC: D3F300BC 0EF3291C
	v_mfma_f32_16x16x32_fp8_fp8 v[188:191], a[30:31], v[150:151], v[188:191]// 000000009404: D3F300BC 0EF32D1E
	s_waitcnt vmcnt(20)                                        // 00000000940C: BF8C4F74
	v_accvgpr_read_b32 v46, a48                                // 000000009410: D3D8402E 18000130
	v_cvt_off_f32_i4_e32 v47, v46                              // 000000009418: 7E5E1D2E
	v_cvt_off_f32_i4_sdwa v48, v46 dst_sel:DWORD dst_unused:UNUSED_PRESERVE src0_sel:BYTE_2// 00000000941C: 7E601CF9 0002162E
	v_cvt_pk_fp8_f32 v50, v47, v48                             // 000000009424: D2A20032 0002612F
	v_cvt_off_f32_i4_sdwa v47, v46 dst_sel:DWORD dst_unused:UNUSED_PRESERVE src0_sel:BYTE_1// 00000000942C: 7E5E1CF9 0001162E
	v_cvt_off_f32_i4_sdwa v48, v46 dst_sel:DWORD dst_unused:UNUSED_PRESERVE src0_sel:BYTE_3// 000000009434: 7E601CF9 0003162E
	v_cvt_pk_fp8_f32 v51, v47, v48                             // 00000000943C: D2A20033 0002612F
	v_lshrrev_b32_e32 v49, 4, v46                              // 000000009444: 20625C84
	v_cvt_off_f32_i4_e32 v47, v49                              // 000000009448: 7E5E1D31
	v_cvt_off_f32_i4_sdwa v48, v49 dst_sel:DWORD dst_unused:UNUSED_PRESERVE src0_sel:BYTE_2// 00000000944C: 7E601CF9 00021631
	v_cvt_pk_fp8_f32 v50, v47, v48 op_sel:[0,0,1]              // 000000009454: D2A24032 0002612F
	v_cvt_off_f32_i4_sdwa v47, v49 dst_sel:DWORD dst_unused:UNUSED_PRESERVE src0_sel:BYTE_1// 00000000945C: 7E5E1CF9 00011631
	v_cvt_off_f32_i4_sdwa v48, v49 dst_sel:DWORD dst_unused:UNUSED_PRESERVE src0_sel:BYTE_3// 000000009464: 7E601CF9 00031631
	v_cvt_pk_fp8_f32 v51, v47, v48 op_sel:[0,0,1]              // 00000000946C: D2A24033 0002612F
	v_accvgpr_write_b32 a32, v50                               // 000000009474: D3D94020 18000132
	v_accvgpr_write_b32 a33, v51                               // 00000000947C: D3D94021 18000133
	s_nop 3                                                    // 000000009484: BF800003
	v_mfma_f32_16x16x32_fp8_fp8 v[160:163], a[32:33], v[136:137], v[160:163]// 000000009488: D3F300A0 0E831120
	v_accvgpr_read_b32 v46, a49                                // 000000009490: D3D8402E 18000131
	v_cvt_off_f32_i4_e32 v47, v46                              // 000000009498: 7E5E1D2E
	v_cvt_off_f32_i4_sdwa v48, v46 dst_sel:DWORD dst_unused:UNUSED_PRESERVE src0_sel:BYTE_2// 00000000949C: 7E601CF9 0002162E
	v_cvt_pk_fp8_f32 v50, v47, v48                             // 0000000094A4: D2A20032 0002612F
	v_cvt_off_f32_i4_sdwa v47, v46 dst_sel:DWORD dst_unused:UNUSED_PRESERVE src0_sel:BYTE_1// 0000000094AC: 7E5E1CF9 0001162E
	v_cvt_off_f32_i4_sdwa v48, v46 dst_sel:DWORD dst_unused:UNUSED_PRESERVE src0_sel:BYTE_3// 0000000094B4: 7E601CF9 0003162E
	v_cvt_pk_fp8_f32 v51, v47, v48                             // 0000000094BC: D2A20033 0002612F
	v_lshrrev_b32_e32 v49, 4, v46                              // 0000000094C4: 20625C84
	v_cvt_off_f32_i4_e32 v47, v49                              // 0000000094C8: 7E5E1D31
	v_cvt_off_f32_i4_sdwa v48, v49 dst_sel:DWORD dst_unused:UNUSED_PRESERVE src0_sel:BYTE_2// 0000000094CC: 7E601CF9 00021631
	v_cvt_pk_fp8_f32 v50, v47, v48 op_sel:[0,0,1]              // 0000000094D4: D2A24032 0002612F
	v_cvt_off_f32_i4_sdwa v47, v49 dst_sel:DWORD dst_unused:UNUSED_PRESERVE src0_sel:BYTE_1// 0000000094DC: 7E5E1CF9 00011631
	v_cvt_off_f32_i4_sdwa v48, v49 dst_sel:DWORD dst_unused:UNUSED_PRESERVE src0_sel:BYTE_3// 0000000094E4: 7E601CF9 00031631
	v_cvt_pk_fp8_f32 v51, v47, v48 op_sel:[0,0,1]              // 0000000094EC: D2A24033 0002612F
	v_accvgpr_write_b32 a34, v50                               // 0000000094F4: D3D94022 18000132
	v_accvgpr_write_b32 a35, v51                               // 0000000094FC: D3D94023 18000133
	s_nop 3                                                    // 000000009504: BF800003
	v_mfma_f32_16x16x32_fp8_fp8 v[160:163], a[34:35], v[138:139], v[160:163]// 000000009508: D3F300A0 0E831522
	buffer_load_dwordx4 a[112:115], v36, s[12:15], 0 offen     // 000000009510: E05C1000 80837024
	v_accvgpr_read_b32 v46, a50                                // 000000009518: D3D8402E 18000132
	v_cvt_off_f32_i4_e32 v47, v46                              // 000000009520: 7E5E1D2E
	v_cvt_off_f32_i4_sdwa v48, v46 dst_sel:DWORD dst_unused:UNUSED_PRESERVE src0_sel:BYTE_2// 000000009524: 7E601CF9 0002162E
	v_cvt_pk_fp8_f32 v50, v47, v48                             // 00000000952C: D2A20032 0002612F
	v_cvt_off_f32_i4_sdwa v47, v46 dst_sel:DWORD dst_unused:UNUSED_PRESERVE src0_sel:BYTE_1// 000000009534: 7E5E1CF9 0001162E
	v_cvt_off_f32_i4_sdwa v48, v46 dst_sel:DWORD dst_unused:UNUSED_PRESERVE src0_sel:BYTE_3// 00000000953C: 7E601CF9 0003162E
	v_cvt_pk_fp8_f32 v51, v47, v48                             // 000000009544: D2A20033 0002612F
	v_lshrrev_b32_e32 v49, 4, v46                              // 00000000954C: 20625C84
	v_cvt_off_f32_i4_e32 v47, v49                              // 000000009550: 7E5E1D31
	v_cvt_off_f32_i4_sdwa v48, v49 dst_sel:DWORD dst_unused:UNUSED_PRESERVE src0_sel:BYTE_2// 000000009554: 7E601CF9 00021631
	v_cvt_pk_fp8_f32 v50, v47, v48 op_sel:[0,0,1]              // 00000000955C: D2A24032 0002612F
	v_cvt_off_f32_i4_sdwa v47, v49 dst_sel:DWORD dst_unused:UNUSED_PRESERVE src0_sel:BYTE_1// 000000009564: 7E5E1CF9 00011631
	v_cvt_off_f32_i4_sdwa v48, v49 dst_sel:DWORD dst_unused:UNUSED_PRESERVE src0_sel:BYTE_3// 00000000956C: 7E601CF9 00031631
	v_cvt_pk_fp8_f32 v51, v47, v48 op_sel:[0,0,1]              // 000000009574: D2A24033 0002612F
	v_accvgpr_write_b32 a36, v50                               // 00000000957C: D3D94024 18000132
	v_accvgpr_write_b32 a37, v51                               // 000000009584: D3D94025 18000133
	s_nop 3                                                    // 00000000958C: BF800003
	v_mfma_f32_16x16x32_fp8_fp8 v[160:163], a[36:37], v[140:141], v[160:163]// 000000009590: D3F300A0 0E831924
	v_accvgpr_read_b32 v46, a51                                // 000000009598: D3D8402E 18000133
	v_cvt_off_f32_i4_e32 v47, v46                              // 0000000095A0: 7E5E1D2E
	v_cvt_off_f32_i4_sdwa v48, v46 dst_sel:DWORD dst_unused:UNUSED_PRESERVE src0_sel:BYTE_2// 0000000095A4: 7E601CF9 0002162E
	v_cvt_pk_fp8_f32 v50, v47, v48                             // 0000000095AC: D2A20032 0002612F
	v_cvt_off_f32_i4_sdwa v47, v46 dst_sel:DWORD dst_unused:UNUSED_PRESERVE src0_sel:BYTE_1// 0000000095B4: 7E5E1CF9 0001162E
	v_cvt_off_f32_i4_sdwa v48, v46 dst_sel:DWORD dst_unused:UNUSED_PRESERVE src0_sel:BYTE_3// 0000000095BC: 7E601CF9 0003162E
	v_cvt_pk_fp8_f32 v51, v47, v48                             // 0000000095C4: D2A20033 0002612F
	v_lshrrev_b32_e32 v49, 4, v46                              // 0000000095CC: 20625C84
	v_cvt_off_f32_i4_e32 v47, v49                              // 0000000095D0: 7E5E1D31
	v_cvt_off_f32_i4_sdwa v48, v49 dst_sel:DWORD dst_unused:UNUSED_PRESERVE src0_sel:BYTE_2// 0000000095D4: 7E601CF9 00021631
	v_cvt_pk_fp8_f32 v50, v47, v48 op_sel:[0,0,1]              // 0000000095DC: D2A24032 0002612F
	v_cvt_off_f32_i4_sdwa v47, v49 dst_sel:DWORD dst_unused:UNUSED_PRESERVE src0_sel:BYTE_1// 0000000095E4: 7E5E1CF9 00011631
	v_cvt_off_f32_i4_sdwa v48, v49 dst_sel:DWORD dst_unused:UNUSED_PRESERVE src0_sel:BYTE_3// 0000000095EC: 7E601CF9 00031631
	v_cvt_pk_fp8_f32 v51, v47, v48 op_sel:[0,0,1]              // 0000000095F4: D2A24033 0002612F
	v_accvgpr_write_b32 a38, v50                               // 0000000095FC: D3D94026 18000132
	v_accvgpr_write_b32 a39, v51                               // 000000009604: D3D94027 18000133
	s_nop 3                                                    // 00000000960C: BF800003
	v_mfma_f32_16x16x32_fp8_fp8 v[160:163], a[38:39], v[142:143], v[160:163]// 000000009610: D3F300A0 0E831D26
	v_mfma_f32_16x16x32_fp8_fp8 v[164:167], a[32:33], v[152:153], v[164:167]// 000000009618: D3F300A4 0E933120
	v_mfma_f32_16x16x32_fp8_fp8 v[164:167], a[34:35], v[154:155], v[164:167]// 000000009620: D3F300A4 0E933522
	v_mfma_f32_16x16x32_fp8_fp8 v[164:167], a[36:37], v[156:157], v[164:167]// 000000009628: D3F300A4 0E933924
	v_mfma_f32_16x16x32_fp8_fp8 v[164:167], a[38:39], v[158:159], v[164:167]// 000000009630: D3F300A4 0E933D26
	v_accvgpr_read_b32 v46, a52                                // 000000009638: D3D8402E 18000134
	v_cvt_off_f32_i4_e32 v47, v46                              // 000000009640: 7E5E1D2E
	v_cvt_off_f32_i4_sdwa v48, v46 dst_sel:DWORD dst_unused:UNUSED_PRESERVE src0_sel:BYTE_2// 000000009644: 7E601CF9 0002162E
	v_cvt_pk_fp8_f32 v50, v47, v48                             // 00000000964C: D2A20032 0002612F
	v_cvt_off_f32_i4_sdwa v47, v46 dst_sel:DWORD dst_unused:UNUSED_PRESERVE src0_sel:BYTE_1// 000000009654: 7E5E1CF9 0001162E
	v_cvt_off_f32_i4_sdwa v48, v46 dst_sel:DWORD dst_unused:UNUSED_PRESERVE src0_sel:BYTE_3// 00000000965C: 7E601CF9 0003162E
	v_cvt_pk_fp8_f32 v51, v47, v48                             // 000000009664: D2A20033 0002612F
	v_lshrrev_b32_e32 v49, 4, v46                              // 00000000966C: 20625C84
	v_cvt_off_f32_i4_e32 v47, v49                              // 000000009670: 7E5E1D31
	v_cvt_off_f32_i4_sdwa v48, v49 dst_sel:DWORD dst_unused:UNUSED_PRESERVE src0_sel:BYTE_2// 000000009674: 7E601CF9 00021631
	v_cvt_pk_fp8_f32 v50, v47, v48 op_sel:[0,0,1]              // 00000000967C: D2A24032 0002612F
	v_cvt_off_f32_i4_sdwa v47, v49 dst_sel:DWORD dst_unused:UNUSED_PRESERVE src0_sel:BYTE_1// 000000009684: 7E5E1CF9 00011631
	v_cvt_off_f32_i4_sdwa v48, v49 dst_sel:DWORD dst_unused:UNUSED_PRESERVE src0_sel:BYTE_3// 00000000968C: 7E601CF9 00031631
	v_cvt_pk_fp8_f32 v51, v47, v48 op_sel:[0,0,1]              // 000000009694: D2A24033 0002612F
	v_accvgpr_write_b32 a40, v50                               // 00000000969C: D3D94028 18000132
	v_accvgpr_write_b32 a41, v51                               // 0000000096A4: D3D94029 18000133
	s_nop 3                                                    // 0000000096AC: BF800003
	v_mfma_f32_16x16x32_fp8_fp8 v[168:171], a[40:41], v[136:137], v[168:171]// 0000000096B0: D3F300A8 0EA31128
	v_accvgpr_read_b32 v46, a53                                // 0000000096B8: D3D8402E 18000135
	v_cvt_off_f32_i4_e32 v47, v46                              // 0000000096C0: 7E5E1D2E
	v_cvt_off_f32_i4_sdwa v48, v46 dst_sel:DWORD dst_unused:UNUSED_PRESERVE src0_sel:BYTE_2// 0000000096C4: 7E601CF9 0002162E
	v_cvt_pk_fp8_f32 v50, v47, v48                             // 0000000096CC: D2A20032 0002612F
	v_cvt_off_f32_i4_sdwa v47, v46 dst_sel:DWORD dst_unused:UNUSED_PRESERVE src0_sel:BYTE_1// 0000000096D4: 7E5E1CF9 0001162E
	v_cvt_off_f32_i4_sdwa v48, v46 dst_sel:DWORD dst_unused:UNUSED_PRESERVE src0_sel:BYTE_3// 0000000096DC: 7E601CF9 0003162E
	v_cvt_pk_fp8_f32 v51, v47, v48                             // 0000000096E4: D2A20033 0002612F
	v_lshrrev_b32_e32 v49, 4, v46                              // 0000000096EC: 20625C84
	v_cvt_off_f32_i4_e32 v47, v49                              // 0000000096F0: 7E5E1D31
	v_cvt_off_f32_i4_sdwa v48, v49 dst_sel:DWORD dst_unused:UNUSED_PRESERVE src0_sel:BYTE_2// 0000000096F4: 7E601CF9 00021631
	v_cvt_pk_fp8_f32 v50, v47, v48 op_sel:[0,0,1]              // 0000000096FC: D2A24032 0002612F
	v_cvt_off_f32_i4_sdwa v47, v49 dst_sel:DWORD dst_unused:UNUSED_PRESERVE src0_sel:BYTE_1// 000000009704: 7E5E1CF9 00011631
	v_cvt_off_f32_i4_sdwa v48, v49 dst_sel:DWORD dst_unused:UNUSED_PRESERVE src0_sel:BYTE_3// 00000000970C: 7E601CF9 00031631
	v_cvt_pk_fp8_f32 v51, v47, v48 op_sel:[0,0,1]              // 000000009714: D2A24033 0002612F
	v_accvgpr_write_b32 a42, v50                               // 00000000971C: D3D9402A 18000132
	v_accvgpr_write_b32 a43, v51                               // 000000009724: D3D9402B 18000133
	s_nop 3                                                    // 00000000972C: BF800003
	v_mfma_f32_16x16x32_fp8_fp8 v[168:171], a[42:43], v[138:139], v[168:171]// 000000009730: D3F300A8 0EA3152A
	buffer_load_dwordx4 a[116:119], v37, s[12:15], 0 offen     // 000000009738: E05C1000 80837425
	v_accvgpr_read_b32 v46, a54                                // 000000009740: D3D8402E 18000136
	v_cvt_off_f32_i4_e32 v47, v46                              // 000000009748: 7E5E1D2E
	v_cvt_off_f32_i4_sdwa v48, v46 dst_sel:DWORD dst_unused:UNUSED_PRESERVE src0_sel:BYTE_2// 00000000974C: 7E601CF9 0002162E
	v_cvt_pk_fp8_f32 v50, v47, v48                             // 000000009754: D2A20032 0002612F
	v_cvt_off_f32_i4_sdwa v47, v46 dst_sel:DWORD dst_unused:UNUSED_PRESERVE src0_sel:BYTE_1// 00000000975C: 7E5E1CF9 0001162E
	v_cvt_off_f32_i4_sdwa v48, v46 dst_sel:DWORD dst_unused:UNUSED_PRESERVE src0_sel:BYTE_3// 000000009764: 7E601CF9 0003162E
	v_cvt_pk_fp8_f32 v51, v47, v48                             // 00000000976C: D2A20033 0002612F
	v_lshrrev_b32_e32 v49, 4, v46                              // 000000009774: 20625C84
	v_cvt_off_f32_i4_e32 v47, v49                              // 000000009778: 7E5E1D31
	v_cvt_off_f32_i4_sdwa v48, v49 dst_sel:DWORD dst_unused:UNUSED_PRESERVE src0_sel:BYTE_2// 00000000977C: 7E601CF9 00021631
	v_cvt_pk_fp8_f32 v50, v47, v48 op_sel:[0,0,1]              // 000000009784: D2A24032 0002612F
	v_cvt_off_f32_i4_sdwa v47, v49 dst_sel:DWORD dst_unused:UNUSED_PRESERVE src0_sel:BYTE_1// 00000000978C: 7E5E1CF9 00011631
	v_cvt_off_f32_i4_sdwa v48, v49 dst_sel:DWORD dst_unused:UNUSED_PRESERVE src0_sel:BYTE_3// 000000009794: 7E601CF9 00031631
	v_cvt_pk_fp8_f32 v51, v47, v48 op_sel:[0,0,1]              // 00000000979C: D2A24033 0002612F
	v_accvgpr_write_b32 a44, v50                               // 0000000097A4: D3D9402C 18000132
	v_accvgpr_write_b32 a45, v51                               // 0000000097AC: D3D9402D 18000133
	s_nop 3                                                    // 0000000097B4: BF800003
	v_mfma_f32_16x16x32_fp8_fp8 v[168:171], a[44:45], v[140:141], v[168:171]// 0000000097B8: D3F300A8 0EA3192C
	v_accvgpr_read_b32 v46, a55                                // 0000000097C0: D3D8402E 18000137
	v_cvt_off_f32_i4_e32 v47, v46                              // 0000000097C8: 7E5E1D2E
	v_cvt_off_f32_i4_sdwa v48, v46 dst_sel:DWORD dst_unused:UNUSED_PRESERVE src0_sel:BYTE_2// 0000000097CC: 7E601CF9 0002162E
	v_cvt_pk_fp8_f32 v50, v47, v48                             // 0000000097D4: D2A20032 0002612F
	v_cvt_off_f32_i4_sdwa v47, v46 dst_sel:DWORD dst_unused:UNUSED_PRESERVE src0_sel:BYTE_1// 0000000097DC: 7E5E1CF9 0001162E
	v_cvt_off_f32_i4_sdwa v48, v46 dst_sel:DWORD dst_unused:UNUSED_PRESERVE src0_sel:BYTE_3// 0000000097E4: 7E601CF9 0003162E
	v_cvt_pk_fp8_f32 v51, v47, v48                             // 0000000097EC: D2A20033 0002612F
	v_lshrrev_b32_e32 v49, 4, v46                              // 0000000097F4: 20625C84
	v_cvt_off_f32_i4_e32 v47, v49                              // 0000000097F8: 7E5E1D31
	v_cvt_off_f32_i4_sdwa v48, v49 dst_sel:DWORD dst_unused:UNUSED_PRESERVE src0_sel:BYTE_2// 0000000097FC: 7E601CF9 00021631
	v_cvt_pk_fp8_f32 v50, v47, v48 op_sel:[0,0,1]              // 000000009804: D2A24032 0002612F
	v_cvt_off_f32_i4_sdwa v47, v49 dst_sel:DWORD dst_unused:UNUSED_PRESERVE src0_sel:BYTE_1// 00000000980C: 7E5E1CF9 00011631
	v_cvt_off_f32_i4_sdwa v48, v49 dst_sel:DWORD dst_unused:UNUSED_PRESERVE src0_sel:BYTE_3// 000000009814: 7E601CF9 00031631
	v_cvt_pk_fp8_f32 v51, v47, v48 op_sel:[0,0,1]              // 00000000981C: D2A24033 0002612F
	v_accvgpr_write_b32 a46, v50                               // 000000009824: D3D9402E 18000132
	v_accvgpr_write_b32 a47, v51                               // 00000000982C: D3D9402F 18000133
	s_nop 3                                                    // 000000009834: BF800003
	v_mfma_f32_16x16x32_fp8_fp8 v[168:171], a[46:47], v[142:143], v[168:171]// 000000009838: D3F300A8 0EA31D2E
	v_mfma_f32_16x16x32_fp8_fp8 v[172:175], a[40:41], v[152:153], v[172:175]// 000000009840: D3F300AC 0EB33128
	v_mfma_f32_16x16x32_fp8_fp8 v[172:175], a[42:43], v[154:155], v[172:175]// 000000009848: D3F300AC 0EB3352A
	v_mfma_f32_16x16x32_fp8_fp8 v[172:175], a[44:45], v[156:157], v[172:175]// 000000009850: D3F300AC 0EB3392C
	v_mfma_f32_16x16x32_fp8_fp8 v[172:175], a[46:47], v[158:159], v[172:175]// 000000009858: D3F300AC 0EB33D2E
	v_accvgpr_read_b32 v46, a56                                // 000000009860: D3D8402E 18000138
	v_cvt_off_f32_i4_e32 v47, v46                              // 000000009868: 7E5E1D2E
	v_cvt_off_f32_i4_sdwa v48, v46 dst_sel:DWORD dst_unused:UNUSED_PRESERVE src0_sel:BYTE_2// 00000000986C: 7E601CF9 0002162E
	v_cvt_pk_fp8_f32 v50, v47, v48                             // 000000009874: D2A20032 0002612F
	v_cvt_off_f32_i4_sdwa v47, v46 dst_sel:DWORD dst_unused:UNUSED_PRESERVE src0_sel:BYTE_1// 00000000987C: 7E5E1CF9 0001162E
	v_cvt_off_f32_i4_sdwa v48, v46 dst_sel:DWORD dst_unused:UNUSED_PRESERVE src0_sel:BYTE_3// 000000009884: 7E601CF9 0003162E
	v_cvt_pk_fp8_f32 v51, v47, v48                             // 00000000988C: D2A20033 0002612F
	v_lshrrev_b32_e32 v49, 4, v46                              // 000000009894: 20625C84
	v_cvt_off_f32_i4_e32 v47, v49                              // 000000009898: 7E5E1D31
	v_cvt_off_f32_i4_sdwa v48, v49 dst_sel:DWORD dst_unused:UNUSED_PRESERVE src0_sel:BYTE_2// 00000000989C: 7E601CF9 00021631
	v_cvt_pk_fp8_f32 v50, v47, v48 op_sel:[0,0,1]              // 0000000098A4: D2A24032 0002612F
	v_cvt_off_f32_i4_sdwa v47, v49 dst_sel:DWORD dst_unused:UNUSED_PRESERVE src0_sel:BYTE_1// 0000000098AC: 7E5E1CF9 00011631
	v_cvt_off_f32_i4_sdwa v48, v49 dst_sel:DWORD dst_unused:UNUSED_PRESERVE src0_sel:BYTE_3// 0000000098B4: 7E601CF9 00031631
	v_cvt_pk_fp8_f32 v51, v47, v48 op_sel:[0,0,1]              // 0000000098BC: D2A24033 0002612F
	v_accvgpr_write_b32 a48, v50                               // 0000000098C4: D3D94030 18000132
	v_accvgpr_write_b32 a49, v51                               // 0000000098CC: D3D94031 18000133
	s_nop 3                                                    // 0000000098D4: BF800003
	v_mfma_f32_16x16x32_fp8_fp8 v[176:179], a[48:49], v[136:137], v[176:179]// 0000000098D8: D3F300B0 0EC31130
	v_accvgpr_read_b32 v46, a57                                // 0000000098E0: D3D8402E 18000139
	v_cvt_off_f32_i4_e32 v47, v46                              // 0000000098E8: 7E5E1D2E
	v_cvt_off_f32_i4_sdwa v48, v46 dst_sel:DWORD dst_unused:UNUSED_PRESERVE src0_sel:BYTE_2// 0000000098EC: 7E601CF9 0002162E
	v_cvt_pk_fp8_f32 v50, v47, v48                             // 0000000098F4: D2A20032 0002612F
	v_cvt_off_f32_i4_sdwa v47, v46 dst_sel:DWORD dst_unused:UNUSED_PRESERVE src0_sel:BYTE_1// 0000000098FC: 7E5E1CF9 0001162E
	v_cvt_off_f32_i4_sdwa v48, v46 dst_sel:DWORD dst_unused:UNUSED_PRESERVE src0_sel:BYTE_3// 000000009904: 7E601CF9 0003162E
	v_cvt_pk_fp8_f32 v51, v47, v48                             // 00000000990C: D2A20033 0002612F
	v_lshrrev_b32_e32 v49, 4, v46                              // 000000009914: 20625C84
	v_cvt_off_f32_i4_e32 v47, v49                              // 000000009918: 7E5E1D31
	v_cvt_off_f32_i4_sdwa v48, v49 dst_sel:DWORD dst_unused:UNUSED_PRESERVE src0_sel:BYTE_2// 00000000991C: 7E601CF9 00021631
	v_cvt_pk_fp8_f32 v50, v47, v48 op_sel:[0,0,1]              // 000000009924: D2A24032 0002612F
	v_cvt_off_f32_i4_sdwa v47, v49 dst_sel:DWORD dst_unused:UNUSED_PRESERVE src0_sel:BYTE_1// 00000000992C: 7E5E1CF9 00011631
	v_cvt_off_f32_i4_sdwa v48, v49 dst_sel:DWORD dst_unused:UNUSED_PRESERVE src0_sel:BYTE_3// 000000009934: 7E601CF9 00031631
	v_cvt_pk_fp8_f32 v51, v47, v48 op_sel:[0,0,1]              // 00000000993C: D2A24033 0002612F
	v_accvgpr_write_b32 a50, v50                               // 000000009944: D3D94032 18000132
	v_accvgpr_write_b32 a51, v51                               // 00000000994C: D3D94033 18000133
	s_nop 3                                                    // 000000009954: BF800003
	v_mfma_f32_16x16x32_fp8_fp8 v[176:179], a[50:51], v[138:139], v[176:179]// 000000009958: D3F300B0 0EC31532
	buffer_load_dwordx4 a[120:123], v38, s[12:15], 0 offen     // 000000009960: E05C1000 80837826
	v_accvgpr_read_b32 v46, a58                                // 000000009968: D3D8402E 1800013A
	v_cvt_off_f32_i4_e32 v47, v46                              // 000000009970: 7E5E1D2E
	v_cvt_off_f32_i4_sdwa v48, v46 dst_sel:DWORD dst_unused:UNUSED_PRESERVE src0_sel:BYTE_2// 000000009974: 7E601CF9 0002162E
	v_cvt_pk_fp8_f32 v50, v47, v48                             // 00000000997C: D2A20032 0002612F
	v_cvt_off_f32_i4_sdwa v47, v46 dst_sel:DWORD dst_unused:UNUSED_PRESERVE src0_sel:BYTE_1// 000000009984: 7E5E1CF9 0001162E
	v_cvt_off_f32_i4_sdwa v48, v46 dst_sel:DWORD dst_unused:UNUSED_PRESERVE src0_sel:BYTE_3// 00000000998C: 7E601CF9 0003162E
	v_cvt_pk_fp8_f32 v51, v47, v48                             // 000000009994: D2A20033 0002612F
	v_lshrrev_b32_e32 v49, 4, v46                              // 00000000999C: 20625C84
	v_cvt_off_f32_i4_e32 v47, v49                              // 0000000099A0: 7E5E1D31
	v_cvt_off_f32_i4_sdwa v48, v49 dst_sel:DWORD dst_unused:UNUSED_PRESERVE src0_sel:BYTE_2// 0000000099A4: 7E601CF9 00021631
	v_cvt_pk_fp8_f32 v50, v47, v48 op_sel:[0,0,1]              // 0000000099AC: D2A24032 0002612F
	v_cvt_off_f32_i4_sdwa v47, v49 dst_sel:DWORD dst_unused:UNUSED_PRESERVE src0_sel:BYTE_1// 0000000099B4: 7E5E1CF9 00011631
	v_cvt_off_f32_i4_sdwa v48, v49 dst_sel:DWORD dst_unused:UNUSED_PRESERVE src0_sel:BYTE_3// 0000000099BC: 7E601CF9 00031631
	v_cvt_pk_fp8_f32 v51, v47, v48 op_sel:[0,0,1]              // 0000000099C4: D2A24033 0002612F
	v_accvgpr_write_b32 a52, v50                               // 0000000099CC: D3D94034 18000132
	v_accvgpr_write_b32 a53, v51                               // 0000000099D4: D3D94035 18000133
	s_nop 3                                                    // 0000000099DC: BF800003
	v_mfma_f32_16x16x32_fp8_fp8 v[176:179], a[52:53], v[140:141], v[176:179]// 0000000099E0: D3F300B0 0EC31934
	v_accvgpr_read_b32 v46, a59                                // 0000000099E8: D3D8402E 1800013B
	v_cvt_off_f32_i4_e32 v47, v46                              // 0000000099F0: 7E5E1D2E
	v_cvt_off_f32_i4_sdwa v48, v46 dst_sel:DWORD dst_unused:UNUSED_PRESERVE src0_sel:BYTE_2// 0000000099F4: 7E601CF9 0002162E
	v_cvt_pk_fp8_f32 v50, v47, v48                             // 0000000099FC: D2A20032 0002612F
	v_cvt_off_f32_i4_sdwa v47, v46 dst_sel:DWORD dst_unused:UNUSED_PRESERVE src0_sel:BYTE_1// 000000009A04: 7E5E1CF9 0001162E
	v_cvt_off_f32_i4_sdwa v48, v46 dst_sel:DWORD dst_unused:UNUSED_PRESERVE src0_sel:BYTE_3// 000000009A0C: 7E601CF9 0003162E
	v_cvt_pk_fp8_f32 v51, v47, v48                             // 000000009A14: D2A20033 0002612F
	v_lshrrev_b32_e32 v49, 4, v46                              // 000000009A1C: 20625C84
	v_cvt_off_f32_i4_e32 v47, v49                              // 000000009A20: 7E5E1D31
	v_cvt_off_f32_i4_sdwa v48, v49 dst_sel:DWORD dst_unused:UNUSED_PRESERVE src0_sel:BYTE_2// 000000009A24: 7E601CF9 00021631
	v_cvt_pk_fp8_f32 v50, v47, v48 op_sel:[0,0,1]              // 000000009A2C: D2A24032 0002612F
	v_cvt_off_f32_i4_sdwa v47, v49 dst_sel:DWORD dst_unused:UNUSED_PRESERVE src0_sel:BYTE_1// 000000009A34: 7E5E1CF9 00011631
	v_cvt_off_f32_i4_sdwa v48, v49 dst_sel:DWORD dst_unused:UNUSED_PRESERVE src0_sel:BYTE_3// 000000009A3C: 7E601CF9 00031631
	v_cvt_pk_fp8_f32 v51, v47, v48 op_sel:[0,0,1]              // 000000009A44: D2A24033 0002612F
	v_accvgpr_write_b32 a54, v50                               // 000000009A4C: D3D94036 18000132
	v_accvgpr_write_b32 a55, v51                               // 000000009A54: D3D94037 18000133
	s_nop 3                                                    // 000000009A5C: BF800003
	v_mfma_f32_16x16x32_fp8_fp8 v[176:179], a[54:55], v[142:143], v[176:179]// 000000009A60: D3F300B0 0EC31D36
	v_mfma_f32_16x16x32_fp8_fp8 v[180:183], a[48:49], v[152:153], v[180:183]// 000000009A68: D3F300B4 0ED33130
	v_mfma_f32_16x16x32_fp8_fp8 v[180:183], a[50:51], v[154:155], v[180:183]// 000000009A70: D3F300B4 0ED33532
	v_mfma_f32_16x16x32_fp8_fp8 v[180:183], a[52:53], v[156:157], v[180:183]// 000000009A78: D3F300B4 0ED33934
	v_mfma_f32_16x16x32_fp8_fp8 v[180:183], a[54:55], v[158:159], v[180:183]// 000000009A80: D3F300B4 0ED33D36
	v_accvgpr_read_b32 v46, a60                                // 000000009A88: D3D8402E 1800013C
	v_cvt_off_f32_i4_e32 v47, v46                              // 000000009A90: 7E5E1D2E
	v_cvt_off_f32_i4_sdwa v48, v46 dst_sel:DWORD dst_unused:UNUSED_PRESERVE src0_sel:BYTE_2// 000000009A94: 7E601CF9 0002162E
	v_cvt_pk_fp8_f32 v50, v47, v48                             // 000000009A9C: D2A20032 0002612F
	v_cvt_off_f32_i4_sdwa v47, v46 dst_sel:DWORD dst_unused:UNUSED_PRESERVE src0_sel:BYTE_1// 000000009AA4: 7E5E1CF9 0001162E
	v_cvt_off_f32_i4_sdwa v48, v46 dst_sel:DWORD dst_unused:UNUSED_PRESERVE src0_sel:BYTE_3// 000000009AAC: 7E601CF9 0003162E
	v_cvt_pk_fp8_f32 v51, v47, v48                             // 000000009AB4: D2A20033 0002612F
	v_lshrrev_b32_e32 v49, 4, v46                              // 000000009ABC: 20625C84
	v_cvt_off_f32_i4_e32 v47, v49                              // 000000009AC0: 7E5E1D31
	v_cvt_off_f32_i4_sdwa v48, v49 dst_sel:DWORD dst_unused:UNUSED_PRESERVE src0_sel:BYTE_2// 000000009AC4: 7E601CF9 00021631
	v_cvt_pk_fp8_f32 v50, v47, v48 op_sel:[0,0,1]              // 000000009ACC: D2A24032 0002612F
	v_cvt_off_f32_i4_sdwa v47, v49 dst_sel:DWORD dst_unused:UNUSED_PRESERVE src0_sel:BYTE_1// 000000009AD4: 7E5E1CF9 00011631
	v_cvt_off_f32_i4_sdwa v48, v49 dst_sel:DWORD dst_unused:UNUSED_PRESERVE src0_sel:BYTE_3// 000000009ADC: 7E601CF9 00031631
	v_cvt_pk_fp8_f32 v51, v47, v48 op_sel:[0,0,1]              // 000000009AE4: D2A24033 0002612F
	v_accvgpr_write_b32 a56, v50                               // 000000009AEC: D3D94038 18000132
	v_accvgpr_write_b32 a57, v51                               // 000000009AF4: D3D94039 18000133
	s_nop 3                                                    // 000000009AFC: BF800003
	v_mfma_f32_16x16x32_fp8_fp8 v[184:187], a[56:57], v[136:137], v[184:187]// 000000009B00: D3F300B8 0EE31138
	v_accvgpr_read_b32 v46, a61                                // 000000009B08: D3D8402E 1800013D
	v_cvt_off_f32_i4_e32 v47, v46                              // 000000009B10: 7E5E1D2E
	v_cvt_off_f32_i4_sdwa v48, v46 dst_sel:DWORD dst_unused:UNUSED_PRESERVE src0_sel:BYTE_2// 000000009B14: 7E601CF9 0002162E
	v_cvt_pk_fp8_f32 v50, v47, v48                             // 000000009B1C: D2A20032 0002612F
	v_cvt_off_f32_i4_sdwa v47, v46 dst_sel:DWORD dst_unused:UNUSED_PRESERVE src0_sel:BYTE_1// 000000009B24: 7E5E1CF9 0001162E
	v_cvt_off_f32_i4_sdwa v48, v46 dst_sel:DWORD dst_unused:UNUSED_PRESERVE src0_sel:BYTE_3// 000000009B2C: 7E601CF9 0003162E
	v_cvt_pk_fp8_f32 v51, v47, v48                             // 000000009B34: D2A20033 0002612F
	v_lshrrev_b32_e32 v49, 4, v46                              // 000000009B3C: 20625C84
	v_cvt_off_f32_i4_e32 v47, v49                              // 000000009B40: 7E5E1D31
	v_cvt_off_f32_i4_sdwa v48, v49 dst_sel:DWORD dst_unused:UNUSED_PRESERVE src0_sel:BYTE_2// 000000009B44: 7E601CF9 00021631
	v_cvt_pk_fp8_f32 v50, v47, v48 op_sel:[0,0,1]              // 000000009B4C: D2A24032 0002612F
	v_cvt_off_f32_i4_sdwa v47, v49 dst_sel:DWORD dst_unused:UNUSED_PRESERVE src0_sel:BYTE_1// 000000009B54: 7E5E1CF9 00011631
	v_cvt_off_f32_i4_sdwa v48, v49 dst_sel:DWORD dst_unused:UNUSED_PRESERVE src0_sel:BYTE_3// 000000009B5C: 7E601CF9 00031631
	v_cvt_pk_fp8_f32 v51, v47, v48 op_sel:[0,0,1]              // 000000009B64: D2A24033 0002612F
	v_accvgpr_write_b32 a58, v50                               // 000000009B6C: D3D9403A 18000132
	v_accvgpr_write_b32 a59, v51                               // 000000009B74: D3D9403B 18000133
	s_nop 3                                                    // 000000009B7C: BF800003
	v_mfma_f32_16x16x32_fp8_fp8 v[184:187], a[58:59], v[138:139], v[184:187]// 000000009B80: D3F300B8 0EE3153A
	buffer_load_dwordx4 a[124:127], v39, s[12:15], 0 offen     // 000000009B88: E05C1000 80837C27
	v_accvgpr_read_b32 v46, a62                                // 000000009B90: D3D8402E 1800013E
	v_cvt_off_f32_i4_e32 v47, v46                              // 000000009B98: 7E5E1D2E
	v_cvt_off_f32_i4_sdwa v48, v46 dst_sel:DWORD dst_unused:UNUSED_PRESERVE src0_sel:BYTE_2// 000000009B9C: 7E601CF9 0002162E
	v_cvt_pk_fp8_f32 v50, v47, v48                             // 000000009BA4: D2A20032 0002612F
	v_cvt_off_f32_i4_sdwa v47, v46 dst_sel:DWORD dst_unused:UNUSED_PRESERVE src0_sel:BYTE_1// 000000009BAC: 7E5E1CF9 0001162E
	v_cvt_off_f32_i4_sdwa v48, v46 dst_sel:DWORD dst_unused:UNUSED_PRESERVE src0_sel:BYTE_3// 000000009BB4: 7E601CF9 0003162E
	v_cvt_pk_fp8_f32 v51, v47, v48                             // 000000009BBC: D2A20033 0002612F
	v_lshrrev_b32_e32 v49, 4, v46                              // 000000009BC4: 20625C84
	v_cvt_off_f32_i4_e32 v47, v49                              // 000000009BC8: 7E5E1D31
	v_cvt_off_f32_i4_sdwa v48, v49 dst_sel:DWORD dst_unused:UNUSED_PRESERVE src0_sel:BYTE_2// 000000009BCC: 7E601CF9 00021631
	v_cvt_pk_fp8_f32 v50, v47, v48 op_sel:[0,0,1]              // 000000009BD4: D2A24032 0002612F
	v_cvt_off_f32_i4_sdwa v47, v49 dst_sel:DWORD dst_unused:UNUSED_PRESERVE src0_sel:BYTE_1// 000000009BDC: 7E5E1CF9 00011631
	v_cvt_off_f32_i4_sdwa v48, v49 dst_sel:DWORD dst_unused:UNUSED_PRESERVE src0_sel:BYTE_3// 000000009BE4: 7E601CF9 00031631
	v_cvt_pk_fp8_f32 v51, v47, v48 op_sel:[0,0,1]              // 000000009BEC: D2A24033 0002612F
	v_accvgpr_write_b32 a60, v50                               // 000000009BF4: D3D9403C 18000132
	v_accvgpr_write_b32 a61, v51                               // 000000009BFC: D3D9403D 18000133
	s_nop 3                                                    // 000000009C04: BF800003
	v_mfma_f32_16x16x32_fp8_fp8 v[184:187], a[60:61], v[140:141], v[184:187]// 000000009C08: D3F300B8 0EE3193C
	v_accvgpr_read_b32 v46, a63                                // 000000009C10: D3D8402E 1800013F
	v_cvt_off_f32_i4_e32 v47, v46                              // 000000009C18: 7E5E1D2E
	v_cvt_off_f32_i4_sdwa v48, v46 dst_sel:DWORD dst_unused:UNUSED_PRESERVE src0_sel:BYTE_2// 000000009C1C: 7E601CF9 0002162E
	v_cvt_pk_fp8_f32 v50, v47, v48                             // 000000009C24: D2A20032 0002612F
	v_cvt_off_f32_i4_sdwa v47, v46 dst_sel:DWORD dst_unused:UNUSED_PRESERVE src0_sel:BYTE_1// 000000009C2C: 7E5E1CF9 0001162E
	v_cvt_off_f32_i4_sdwa v48, v46 dst_sel:DWORD dst_unused:UNUSED_PRESERVE src0_sel:BYTE_3// 000000009C34: 7E601CF9 0003162E
	v_cvt_pk_fp8_f32 v51, v47, v48                             // 000000009C3C: D2A20033 0002612F
	v_lshrrev_b32_e32 v49, 4, v46                              // 000000009C44: 20625C84
	v_cvt_off_f32_i4_e32 v47, v49                              // 000000009C48: 7E5E1D31
	v_cvt_off_f32_i4_sdwa v48, v49 dst_sel:DWORD dst_unused:UNUSED_PRESERVE src0_sel:BYTE_2// 000000009C4C: 7E601CF9 00021631
	v_cvt_pk_fp8_f32 v50, v47, v48 op_sel:[0,0,1]              // 000000009C54: D2A24032 0002612F
	v_cvt_off_f32_i4_sdwa v47, v49 dst_sel:DWORD dst_unused:UNUSED_PRESERVE src0_sel:BYTE_1// 000000009C5C: 7E5E1CF9 00011631
	v_cvt_off_f32_i4_sdwa v48, v49 dst_sel:DWORD dst_unused:UNUSED_PRESERVE src0_sel:BYTE_3// 000000009C64: 7E601CF9 00031631
	v_cvt_pk_fp8_f32 v51, v47, v48 op_sel:[0,0,1]              // 000000009C6C: D2A24033 0002612F
	v_accvgpr_write_b32 a62, v50                               // 000000009C74: D3D9403E 18000132
	v_accvgpr_write_b32 a63, v51                               // 000000009C7C: D3D9403F 18000133
	s_nop 3                                                    // 000000009C84: BF800003
	v_mfma_f32_16x16x32_fp8_fp8 v[184:187], a[62:63], v[142:143], v[184:187]// 000000009C88: D3F300B8 0EE31D3E
	v_mfma_f32_16x16x32_fp8_fp8 v[188:191], a[56:57], v[152:153], v[188:191]// 000000009C90: D3F300BC 0EF33138
	v_mfma_f32_16x16x32_fp8_fp8 v[188:191], a[58:59], v[154:155], v[188:191]// 000000009C98: D3F300BC 0EF3353A
	v_mfma_f32_16x16x32_fp8_fp8 v[188:191], a[60:61], v[156:157], v[188:191]// 000000009CA0: D3F300BC 0EF3393C
	v_mfma_f32_16x16x32_fp8_fp8 v[188:191], a[62:63], v[158:159], v[188:191]// 000000009CA8: D3F300BC 0EF33D3E
	s_add_u32 s60, 0x200, s80                                  // 000000009CB0: 803C50FF 00000200
	s_cmp_lt_u32 s60, s81                                      // 000000009CB8: BF0A513C
	s_cselect_b32 s56, s56, 0                                  // 000000009CBC: 85388038
	s_cselect_b32 s78, s78, 0                                  // 000000009CC0: 854E804E
	s_cselect_b32 s79, s79, 0                                  // 000000009CC4: 854F804F
	s_add_u32 s12, s56, s12                                    // 000000009CC8: 800C0C38
	s_addc_u32 s13, 0, s13                                     // 000000009CCC: 820D0D80
	s_add_u32 s16, s79, s16                                    // 000000009CD0: 8010104F
	s_addc_u32 s17, 0, s17                                     // 000000009CD4: 82111180
	v_mul_f32_e32 v160, v22, v160                              // 000000009CD8: 0B414116
	v_mul_f32_e32 v160, 0x41800000, v160                       // 000000009CDC: 0B4140FF 41800000
	v_mul_f32_e32 v161, v22, v161                              // 000000009CE4: 0B434316
	v_mul_f32_e32 v161, 0x41800000, v161                       // 000000009CE8: 0B4342FF 41800000
	v_mul_f32_e32 v162, v22, v162                              // 000000009CF0: 0B454516
	v_mul_f32_e32 v162, 0x41800000, v162                       // 000000009CF4: 0B4544FF 41800000
	v_mul_f32_e32 v163, v22, v163                              // 000000009CFC: 0B474716
	v_mul_f32_e32 v163, 0x41800000, v163                       // 000000009D00: 0B4746FF 41800000
	v_mul_f32_dpp v160, v11, v160 row_newbcast:0 row_mask:0xf bank_mask:0xf// 000000009D08: 0B4140FA FF01500B
	v_mul_f32_dpp v161, v11, v161 row_newbcast:1 row_mask:0xf bank_mask:0xf// 000000009D10: 0B4342FA FF01510B
	v_mul_f32_dpp v162, v11, v162 row_newbcast:2 row_mask:0xf bank_mask:0xf// 000000009D18: 0B4544FA FF01520B
	v_mul_f32_dpp v163, v11, v163 row_newbcast:3 row_mask:0xf bank_mask:0xf// 000000009D20: 0B4746FA FF01530B
	v_mul_f32_e32 v160, v17, v160                              // 000000009D28: 0B414111
	v_mul_f32_e32 v161, v17, v161                              // 000000009D2C: 0B434311
	v_mul_f32_e32 v162, v17, v162                              // 000000009D30: 0B454511
	v_mul_f32_e32 v163, v17, v163                              // 000000009D34: 0B474711
	v_mul_f32_e32 v164, v23, v164                              // 000000009D38: 0B494917
	v_mul_f32_e32 v164, 0x41800000, v164                       // 000000009D3C: 0B4948FF 41800000
	v_mul_f32_e32 v165, v23, v165                              // 000000009D44: 0B4B4B17
	v_mul_f32_e32 v165, 0x41800000, v165                       // 000000009D48: 0B4B4AFF 41800000
	v_mul_f32_e32 v166, v23, v166                              // 000000009D50: 0B4D4D17
	v_mul_f32_e32 v166, 0x41800000, v166                       // 000000009D54: 0B4D4CFF 41800000
	v_mul_f32_e32 v167, v23, v167                              // 000000009D5C: 0B4F4F17
	v_mul_f32_e32 v167, 0x41800000, v167                       // 000000009D60: 0B4F4EFF 41800000
	v_mul_f32_dpp v164, v11, v164 row_newbcast:0 row_mask:0xf bank_mask:0xf// 000000009D68: 0B4948FA FF01500B
	v_mul_f32_dpp v165, v11, v165 row_newbcast:1 row_mask:0xf bank_mask:0xf// 000000009D70: 0B4B4AFA FF01510B
	v_mul_f32_dpp v166, v11, v166 row_newbcast:2 row_mask:0xf bank_mask:0xf// 000000009D78: 0B4D4CFA FF01520B
	v_mul_f32_dpp v167, v11, v167 row_newbcast:3 row_mask:0xf bank_mask:0xf// 000000009D80: 0B4F4EFA FF01530B
	v_mul_f32_e32 v164, v18, v164                              // 000000009D88: 0B494912
	v_mul_f32_e32 v165, v18, v165                              // 000000009D8C: 0B4B4B12
	v_mul_f32_e32 v166, v18, v166                              // 000000009D90: 0B4D4D12
	v_mul_f32_e32 v167, v18, v167                              // 000000009D94: 0B4F4F12
	v_mul_f32_e32 v168, v22, v168                              // 000000009D98: 0B515116
	v_mul_f32_e32 v168, 0x41800000, v168                       // 000000009D9C: 0B5150FF 41800000
	v_mul_f32_e32 v169, v22, v169                              // 000000009DA4: 0B535316
	v_mul_f32_e32 v169, 0x41800000, v169                       // 000000009DA8: 0B5352FF 41800000
	v_mul_f32_e32 v170, v22, v170                              // 000000009DB0: 0B555516
	v_mul_f32_e32 v170, 0x41800000, v170                       // 000000009DB4: 0B5554FF 41800000
	v_mul_f32_e32 v171, v22, v171                              // 000000009DBC: 0B575716
	v_mul_f32_e32 v171, 0x41800000, v171                       // 000000009DC0: 0B5756FF 41800000
	v_mul_f32_dpp v168, v11, v168 row_newbcast:4 row_mask:0xf bank_mask:0xf// 000000009DC8: 0B5150FA FF01540B
	v_mul_f32_dpp v169, v11, v169 row_newbcast:5 row_mask:0xf bank_mask:0xf// 000000009DD0: 0B5352FA FF01550B
	v_mul_f32_dpp v170, v11, v170 row_newbcast:6 row_mask:0xf bank_mask:0xf// 000000009DD8: 0B5554FA FF01560B
	v_mul_f32_dpp v171, v11, v171 row_newbcast:7 row_mask:0xf bank_mask:0xf// 000000009DE0: 0B5756FA FF01570B
	v_mul_f32_e32 v168, v17, v168                              // 000000009DE8: 0B515111
	v_mul_f32_e32 v169, v17, v169                              // 000000009DEC: 0B535311
	v_mul_f32_e32 v170, v17, v170                              // 000000009DF0: 0B555511
	v_mul_f32_e32 v171, v17, v171                              // 000000009DF4: 0B575711
	v_mul_f32_e32 v172, v23, v172                              // 000000009DF8: 0B595917
	v_mul_f32_e32 v172, 0x41800000, v172                       // 000000009DFC: 0B5958FF 41800000
	v_mul_f32_e32 v173, v23, v173                              // 000000009E04: 0B5B5B17
	v_mul_f32_e32 v173, 0x41800000, v173                       // 000000009E08: 0B5B5AFF 41800000
	v_mul_f32_e32 v174, v23, v174                              // 000000009E10: 0B5D5D17
	v_mul_f32_e32 v174, 0x41800000, v174                       // 000000009E14: 0B5D5CFF 41800000
	v_mul_f32_e32 v175, v23, v175                              // 000000009E1C: 0B5F5F17
	v_mul_f32_e32 v175, 0x41800000, v175                       // 000000009E20: 0B5F5EFF 41800000
	v_mul_f32_dpp v172, v11, v172 row_newbcast:4 row_mask:0xf bank_mask:0xf// 000000009E28: 0B5958FA FF01540B
	v_mul_f32_dpp v173, v11, v173 row_newbcast:5 row_mask:0xf bank_mask:0xf// 000000009E30: 0B5B5AFA FF01550B
	v_mul_f32_dpp v174, v11, v174 row_newbcast:6 row_mask:0xf bank_mask:0xf// 000000009E38: 0B5D5CFA FF01560B
	v_mul_f32_dpp v175, v11, v175 row_newbcast:7 row_mask:0xf bank_mask:0xf// 000000009E40: 0B5F5EFA FF01570B
	v_mul_f32_e32 v172, v18, v172                              // 000000009E48: 0B595912
	v_mul_f32_e32 v173, v18, v173                              // 000000009E4C: 0B5B5B12
	v_mul_f32_e32 v174, v18, v174                              // 000000009E50: 0B5D5D12
	v_mul_f32_e32 v175, v18, v175                              // 000000009E54: 0B5F5F12
	v_mul_f32_e32 v176, v22, v176                              // 000000009E58: 0B616116
	v_mul_f32_e32 v176, 0x41800000, v176                       // 000000009E5C: 0B6160FF 41800000
	v_mul_f32_e32 v177, v22, v177                              // 000000009E64: 0B636316
	v_mul_f32_e32 v177, 0x41800000, v177                       // 000000009E68: 0B6362FF 41800000
	v_mul_f32_e32 v178, v22, v178                              // 000000009E70: 0B656516
	v_mul_f32_e32 v178, 0x41800000, v178                       // 000000009E74: 0B6564FF 41800000
	v_mul_f32_e32 v179, v22, v179                              // 000000009E7C: 0B676716
	v_mul_f32_e32 v179, 0x41800000, v179                       // 000000009E80: 0B6766FF 41800000
	v_mul_f32_dpp v176, v11, v176 row_newbcast:8 row_mask:0xf bank_mask:0xf// 000000009E88: 0B6160FA FF01580B
	v_mul_f32_dpp v177, v11, v177 row_newbcast:9 row_mask:0xf bank_mask:0xf// 000000009E90: 0B6362FA FF01590B
	v_mul_f32_dpp v178, v11, v178 row_newbcast:10 row_mask:0xf bank_mask:0xf// 000000009E98: 0B6564FA FF015A0B
	v_mul_f32_dpp v179, v11, v179 row_newbcast:11 row_mask:0xf bank_mask:0xf// 000000009EA0: 0B6766FA FF015B0B
	v_mul_f32_e32 v176, v17, v176                              // 000000009EA8: 0B616111
	v_mul_f32_e32 v177, v17, v177                              // 000000009EAC: 0B636311
	v_mul_f32_e32 v178, v17, v178                              // 000000009EB0: 0B656511
	v_mul_f32_e32 v179, v17, v179                              // 000000009EB4: 0B676711
	v_mul_f32_e32 v180, v23, v180                              // 000000009EB8: 0B696917
	v_mul_f32_e32 v180, 0x41800000, v180                       // 000000009EBC: 0B6968FF 41800000
	v_mul_f32_e32 v181, v23, v181                              // 000000009EC4: 0B6B6B17
	v_mul_f32_e32 v181, 0x41800000, v181                       // 000000009EC8: 0B6B6AFF 41800000
	v_mul_f32_e32 v182, v23, v182                              // 000000009ED0: 0B6D6D17
	v_mul_f32_e32 v182, 0x41800000, v182                       // 000000009ED4: 0B6D6CFF 41800000
	v_mul_f32_e32 v183, v23, v183                              // 000000009EDC: 0B6F6F17
	v_mul_f32_e32 v183, 0x41800000, v183                       // 000000009EE0: 0B6F6EFF 41800000
	v_mul_f32_dpp v180, v11, v180 row_newbcast:8 row_mask:0xf bank_mask:0xf// 000000009EE8: 0B6968FA FF01580B
	v_mul_f32_dpp v181, v11, v181 row_newbcast:9 row_mask:0xf bank_mask:0xf// 000000009EF0: 0B6B6AFA FF01590B
	v_mul_f32_dpp v182, v11, v182 row_newbcast:10 row_mask:0xf bank_mask:0xf// 000000009EF8: 0B6D6CFA FF015A0B
	v_mul_f32_dpp v183, v11, v183 row_newbcast:11 row_mask:0xf bank_mask:0xf// 000000009F00: 0B6F6EFA FF015B0B
	v_mul_f32_e32 v180, v18, v180                              // 000000009F08: 0B696912
	v_mul_f32_e32 v181, v18, v181                              // 000000009F0C: 0B6B6B12
	v_mul_f32_e32 v182, v18, v182                              // 000000009F10: 0B6D6D12
	v_mul_f32_e32 v183, v18, v183                              // 000000009F14: 0B6F6F12
	v_mul_f32_e32 v184, v22, v184                              // 000000009F18: 0B717116
	v_mul_f32_e32 v184, 0x41800000, v184                       // 000000009F1C: 0B7170FF 41800000
	v_mul_f32_e32 v185, v22, v185                              // 000000009F24: 0B737316
	v_mul_f32_e32 v185, 0x41800000, v185                       // 000000009F28: 0B7372FF 41800000
	v_mul_f32_e32 v186, v22, v186                              // 000000009F30: 0B757516
	v_mul_f32_e32 v186, 0x41800000, v186                       // 000000009F34: 0B7574FF 41800000
	v_mul_f32_e32 v187, v22, v187                              // 000000009F3C: 0B777716
	v_mul_f32_e32 v187, 0x41800000, v187                       // 000000009F40: 0B7776FF 41800000
	v_mul_f32_dpp v184, v11, v184 row_newbcast:12 row_mask:0xf bank_mask:0xf// 000000009F48: 0B7170FA FF015C0B
	v_mul_f32_dpp v185, v11, v185 row_newbcast:13 row_mask:0xf bank_mask:0xf// 000000009F50: 0B7372FA FF015D0B
	v_mul_f32_dpp v186, v11, v186 row_newbcast:14 row_mask:0xf bank_mask:0xf// 000000009F58: 0B7574FA FF015E0B
	v_mul_f32_dpp v187, v11, v187 row_newbcast:15 row_mask:0xf bank_mask:0xf// 000000009F60: 0B7776FA FF015F0B
	v_mul_f32_e32 v184, v17, v184                              // 000000009F68: 0B717111
	v_mul_f32_e32 v185, v17, v185                              // 000000009F6C: 0B737311
	v_mul_f32_e32 v186, v17, v186                              // 000000009F70: 0B757511
	v_mul_f32_e32 v187, v17, v187                              // 000000009F74: 0B777711
	v_mul_f32_e32 v188, v23, v188                              // 000000009F78: 0B797917
	v_mul_f32_e32 v188, 0x41800000, v188                       // 000000009F7C: 0B7978FF 41800000
	v_mul_f32_e32 v189, v23, v189                              // 000000009F84: 0B7B7B17
	v_mul_f32_e32 v189, 0x41800000, v189                       // 000000009F88: 0B7B7AFF 41800000
	v_mul_f32_e32 v190, v23, v190                              // 000000009F90: 0B7D7D17
	v_mul_f32_e32 v190, 0x41800000, v190                       // 000000009F94: 0B7D7CFF 41800000
	v_mul_f32_e32 v191, v23, v191                              // 000000009F9C: 0B7F7F17
	v_mul_f32_e32 v191, 0x41800000, v191                       // 000000009FA0: 0B7F7EFF 41800000
	v_mul_f32_dpp v188, v11, v188 row_newbcast:12 row_mask:0xf bank_mask:0xf// 000000009FA8: 0B7978FA FF015C0B
	v_mul_f32_dpp v189, v11, v189 row_newbcast:13 row_mask:0xf bank_mask:0xf// 000000009FB0: 0B7B7AFA FF015D0B
	v_mul_f32_dpp v190, v11, v190 row_newbcast:14 row_mask:0xf bank_mask:0xf// 000000009FB8: 0B7D7CFA FF015E0B
	v_mul_f32_dpp v191, v11, v191 row_newbcast:15 row_mask:0xf bank_mask:0xf// 000000009FC0: 0B7F7EFA FF015F0B
	v_mul_f32_e32 v188, v18, v188                              // 000000009FC8: 0B797912
	v_mul_f32_e32 v189, v18, v189                              // 000000009FCC: 0B7B7B12
	v_mul_f32_e32 v190, v18, v190                              // 000000009FD0: 0B7D7D12
	v_mul_f32_e32 v191, v18, v191                              // 000000009FD4: 0B7F7F12
	v_cmp_u_f32_e64 s[48:49], v160, v160                       // 000000009FD8: D0480030 000341A0
	v_add3_u32 v40, v160, v43, 1                               // 000000009FE0: D1FF0028 020657A0
	v_cndmask_b32_e64 v46, v40, v42, s[48:49]                  // 000000009FE8: D100002E 00C25528
	v_cmp_u_f32_e64 s[48:49], v161, v161                       // 000000009FF0: D0480030 000343A1
	v_add3_u32 v40, v161, v43, 1                               // 000000009FF8: D1FF0028 020657A1
	v_cndmask_b32_e64 v47, v40, v42, s[48:49]                  // 00000000A000: D100002F 00C25528
	v_perm_b32 v160, v47, v46, s52                             // 00000000A008: D1ED00A0 00D25D2F
	v_cmp_u_f32_e64 s[48:49], v162, v162                       // 00000000A010: D0480030 000345A2
	v_add3_u32 v40, v162, v43, 1                               // 00000000A018: D1FF0028 020657A2
	v_cndmask_b32_e64 v46, v40, v42, s[48:49]                  // 00000000A020: D100002E 00C25528
	v_cmp_u_f32_e64 s[48:49], v163, v163                       // 00000000A028: D0480030 000347A3
	v_add3_u32 v40, v163, v43, 1                               // 00000000A030: D1FF0028 020657A3
	v_cndmask_b32_e64 v47, v40, v42, s[48:49]                  // 00000000A038: D100002F 00C25528
	v_perm_b32 v161, v47, v46, s52                             // 00000000A040: D1ED00A1 00D25D2F
	v_cmp_u_f32_e64 s[48:49], v164, v164                       // 00000000A048: D0480030 000349A4
	v_add3_u32 v40, v164, v43, 1                               // 00000000A050: D1FF0028 020657A4
	v_cndmask_b32_e64 v46, v40, v42, s[48:49]                  // 00000000A058: D100002E 00C25528
	v_cmp_u_f32_e64 s[48:49], v165, v165                       // 00000000A060: D0480030 00034BA5
	v_add3_u32 v40, v165, v43, 1                               // 00000000A068: D1FF0028 020657A5
	v_cndmask_b32_e64 v47, v40, v42, s[48:49]                  // 00000000A070: D100002F 00C25528
	v_perm_b32 v162, v47, v46, s52                             // 00000000A078: D1ED00A2 00D25D2F
	v_cmp_u_f32_e64 s[48:49], v166, v166                       // 00000000A080: D0480030 00034DA6
	v_add3_u32 v40, v166, v43, 1                               // 00000000A088: D1FF0028 020657A6
	v_cndmask_b32_e64 v46, v40, v42, s[48:49]                  // 00000000A090: D100002E 00C25528
	v_cmp_u_f32_e64 s[48:49], v167, v167                       // 00000000A098: D0480030 00034FA7
	v_add3_u32 v40, v167, v43, 1                               // 00000000A0A0: D1FF0028 020657A7
	v_cndmask_b32_e64 v47, v40, v42, s[48:49]                  // 00000000A0A8: D100002F 00C25528
	v_perm_b32 v163, v47, v46, s52                             // 00000000A0B0: D1ED00A3 00D25D2F
	v_cmp_u_f32_e64 s[48:49], v168, v168                       // 00000000A0B8: D0480030 000351A8
	v_add3_u32 v40, v168, v43, 1                               // 00000000A0C0: D1FF0028 020657A8
	v_cndmask_b32_e64 v46, v40, v42, s[48:49]                  // 00000000A0C8: D100002E 00C25528
	v_cmp_u_f32_e64 s[48:49], v169, v169                       // 00000000A0D0: D0480030 000353A9
	v_add3_u32 v40, v169, v43, 1                               // 00000000A0D8: D1FF0028 020657A9
	v_cndmask_b32_e64 v47, v40, v42, s[48:49]                  // 00000000A0E0: D100002F 00C25528
	v_perm_b32 v164, v47, v46, s52                             // 00000000A0E8: D1ED00A4 00D25D2F
	v_cmp_u_f32_e64 s[48:49], v170, v170                       // 00000000A0F0: D0480030 000355AA
	v_add3_u32 v40, v170, v43, 1                               // 00000000A0F8: D1FF0028 020657AA
	v_cndmask_b32_e64 v46, v40, v42, s[48:49]                  // 00000000A100: D100002E 00C25528
	v_cmp_u_f32_e64 s[48:49], v171, v171                       // 00000000A108: D0480030 000357AB
	v_add3_u32 v40, v171, v43, 1                               // 00000000A110: D1FF0028 020657AB
	v_cndmask_b32_e64 v47, v40, v42, s[48:49]                  // 00000000A118: D100002F 00C25528
	v_perm_b32 v165, v47, v46, s52                             // 00000000A120: D1ED00A5 00D25D2F
	v_cmp_u_f32_e64 s[48:49], v172, v172                       // 00000000A128: D0480030 000359AC
	v_add3_u32 v40, v172, v43, 1                               // 00000000A130: D1FF0028 020657AC
	v_cndmask_b32_e64 v46, v40, v42, s[48:49]                  // 00000000A138: D100002E 00C25528
	v_cmp_u_f32_e64 s[48:49], v173, v173                       // 00000000A140: D0480030 00035BAD
	v_add3_u32 v40, v173, v43, 1                               // 00000000A148: D1FF0028 020657AD
	v_cndmask_b32_e64 v47, v40, v42, s[48:49]                  // 00000000A150: D100002F 00C25528
	v_perm_b32 v166, v47, v46, s52                             // 00000000A158: D1ED00A6 00D25D2F
	v_cmp_u_f32_e64 s[48:49], v174, v174                       // 00000000A160: D0480030 00035DAE
	v_add3_u32 v40, v174, v43, 1                               // 00000000A168: D1FF0028 020657AE
	v_cndmask_b32_e64 v46, v40, v42, s[48:49]                  // 00000000A170: D100002E 00C25528
	v_cmp_u_f32_e64 s[48:49], v175, v175                       // 00000000A178: D0480030 00035FAF
	v_add3_u32 v40, v175, v43, 1                               // 00000000A180: D1FF0028 020657AF
	v_cndmask_b32_e64 v47, v40, v42, s[48:49]                  // 00000000A188: D100002F 00C25528
	v_perm_b32 v167, v47, v46, s52                             // 00000000A190: D1ED00A7 00D25D2F
	v_cmp_u_f32_e64 s[48:49], v176, v176                       // 00000000A198: D0480030 000361B0
	v_add3_u32 v40, v176, v43, 1                               // 00000000A1A0: D1FF0028 020657B0
	v_cndmask_b32_e64 v46, v40, v42, s[48:49]                  // 00000000A1A8: D100002E 00C25528
	v_cmp_u_f32_e64 s[48:49], v177, v177                       // 00000000A1B0: D0480030 000363B1
	v_add3_u32 v40, v177, v43, 1                               // 00000000A1B8: D1FF0028 020657B1
	v_cndmask_b32_e64 v47, v40, v42, s[48:49]                  // 00000000A1C0: D100002F 00C25528
	v_perm_b32 v168, v47, v46, s52                             // 00000000A1C8: D1ED00A8 00D25D2F
	v_cmp_u_f32_e64 s[48:49], v178, v178                       // 00000000A1D0: D0480030 000365B2
	v_add3_u32 v40, v178, v43, 1                               // 00000000A1D8: D1FF0028 020657B2
	v_cndmask_b32_e64 v46, v40, v42, s[48:49]                  // 00000000A1E0: D100002E 00C25528
	v_cmp_u_f32_e64 s[48:49], v179, v179                       // 00000000A1E8: D0480030 000367B3
	v_add3_u32 v40, v179, v43, 1                               // 00000000A1F0: D1FF0028 020657B3
	v_cndmask_b32_e64 v47, v40, v42, s[48:49]                  // 00000000A1F8: D100002F 00C25528
	v_perm_b32 v169, v47, v46, s52                             // 00000000A200: D1ED00A9 00D25D2F
	v_cmp_u_f32_e64 s[48:49], v180, v180                       // 00000000A208: D0480030 000369B4
	v_add3_u32 v40, v180, v43, 1                               // 00000000A210: D1FF0028 020657B4
	v_cndmask_b32_e64 v46, v40, v42, s[48:49]                  // 00000000A218: D100002E 00C25528
	v_cmp_u_f32_e64 s[48:49], v181, v181                       // 00000000A220: D0480030 00036BB5
	v_add3_u32 v40, v181, v43, 1                               // 00000000A228: D1FF0028 020657B5
	v_cndmask_b32_e64 v47, v40, v42, s[48:49]                  // 00000000A230: D100002F 00C25528
	v_perm_b32 v170, v47, v46, s52                             // 00000000A238: D1ED00AA 00D25D2F
	v_cmp_u_f32_e64 s[48:49], v182, v182                       // 00000000A240: D0480030 00036DB6
	v_add3_u32 v40, v182, v43, 1                               // 00000000A248: D1FF0028 020657B6
	v_cndmask_b32_e64 v46, v40, v42, s[48:49]                  // 00000000A250: D100002E 00C25528
	v_cmp_u_f32_e64 s[48:49], v183, v183                       // 00000000A258: D0480030 00036FB7
	v_add3_u32 v40, v183, v43, 1                               // 00000000A260: D1FF0028 020657B7
	v_cndmask_b32_e64 v47, v40, v42, s[48:49]                  // 00000000A268: D100002F 00C25528
	v_perm_b32 v171, v47, v46, s52                             // 00000000A270: D1ED00AB 00D25D2F
	v_cmp_u_f32_e64 s[48:49], v184, v184                       // 00000000A278: D0480030 000371B8
	v_add3_u32 v40, v184, v43, 1                               // 00000000A280: D1FF0028 020657B8
	v_cndmask_b32_e64 v46, v40, v42, s[48:49]                  // 00000000A288: D100002E 00C25528
	v_cmp_u_f32_e64 s[48:49], v185, v185                       // 00000000A290: D0480030 000373B9
	v_add3_u32 v40, v185, v43, 1                               // 00000000A298: D1FF0028 020657B9
	v_cndmask_b32_e64 v47, v40, v42, s[48:49]                  // 00000000A2A0: D100002F 00C25528
	v_perm_b32 v172, v47, v46, s52                             // 00000000A2A8: D1ED00AC 00D25D2F
	v_cmp_u_f32_e64 s[48:49], v186, v186                       // 00000000A2B0: D0480030 000375BA
	v_add3_u32 v40, v186, v43, 1                               // 00000000A2B8: D1FF0028 020657BA
	v_cndmask_b32_e64 v46, v40, v42, s[48:49]                  // 00000000A2C0: D100002E 00C25528
	v_cmp_u_f32_e64 s[48:49], v187, v187                       // 00000000A2C8: D0480030 000377BB
	v_add3_u32 v40, v187, v43, 1                               // 00000000A2D0: D1FF0028 020657BB
	v_cndmask_b32_e64 v47, v40, v42, s[48:49]                  // 00000000A2D8: D100002F 00C25528
	v_perm_b32 v173, v47, v46, s52                             // 00000000A2E0: D1ED00AD 00D25D2F
	v_cmp_u_f32_e64 s[48:49], v188, v188                       // 00000000A2E8: D0480030 000379BC
	v_add3_u32 v40, v188, v43, 1                               // 00000000A2F0: D1FF0028 020657BC
	v_cndmask_b32_e64 v46, v40, v42, s[48:49]                  // 00000000A2F8: D100002E 00C25528
	v_cmp_u_f32_e64 s[48:49], v189, v189                       // 00000000A300: D0480030 00037BBD
	v_add3_u32 v40, v189, v43, 1                               // 00000000A308: D1FF0028 020657BD
	v_cndmask_b32_e64 v47, v40, v42, s[48:49]                  // 00000000A310: D100002F 00C25528
	v_perm_b32 v174, v47, v46, s52                             // 00000000A318: D1ED00AE 00D25D2F
	v_cmp_u_f32_e64 s[48:49], v190, v190                       // 00000000A320: D0480030 00037DBE
	v_add3_u32 v40, v190, v43, 1                               // 00000000A328: D1FF0028 020657BE
	v_cndmask_b32_e64 v46, v40, v42, s[48:49]                  // 00000000A330: D100002E 00C25528
	v_cmp_u_f32_e64 s[48:49], v191, v191                       // 00000000A338: D0480030 00037FBF
	v_add3_u32 v40, v191, v43, 1                               // 00000000A340: D1FF0028 020657BF
	v_cndmask_b32_e64 v47, v40, v42, s[48:49]                  // 00000000A348: D100002F 00C25528
	v_perm_b32 v175, v47, v46, s52                             // 00000000A350: D1ED00AF 00D25D2F
	ds_write_b64 v3, v[160:161] offset:26880                   // 00000000A358: D89A6900 0000A003
	ds_write_b64 v3, v[162:163] offset:35584                   // 00000000A360: D89A8B00 0000A203
	ds_write_b64 v3, v[164:165] offset:29056                   // 00000000A368: D89A7180 0000A403
	ds_write_b64 v3, v[166:167] offset:37760                   // 00000000A370: D89A9380 0000A603
	ds_write_b64 v3, v[168:169] offset:31232                   // 00000000A378: D89A7A00 0000A803
	ds_write_b64 v3, v[170:171] offset:39936                   // 00000000A380: D89A9C00 0000AA03
	ds_write_b64 v3, v[172:173] offset:33408                   // 00000000A388: D89A8280 0000AC03
	ds_write_b64 v3, v[174:175] offset:42112                   // 00000000A390: D89AA480 0000AE03
	s_waitcnt lgkmcnt(0)                                       // 00000000A398: BF8CC07F
	s_barrier                                                  // 00000000A39C: BF8A0000
	ds_read_b32 v64, v4 offset:26880                           // 00000000A3A0: D86C6900 40000004
	ds_read_b32 v65, v4 offset:31232                           // 00000000A3A8: D86C7A00 41000004
	ds_read_b32 v66, v4 offset:26912                           // 00000000A3B0: D86C6920 42000004
	ds_read_b32 v67, v4 offset:31264                           // 00000000A3B8: D86C7A20 43000004
	ds_read_b32 v68, v4 offset:26944                           // 00000000A3C0: D86C6940 44000004
	ds_read_b32 v69, v4 offset:31296                           // 00000000A3C8: D86C7A40 45000004
	ds_read_b32 v70, v4 offset:26976                           // 00000000A3D0: D86C6960 46000004
	ds_read_b32 v71, v4 offset:31328                           // 00000000A3D8: D86C7A60 47000004
	ds_read_b32 v72, v4 offset:35584                           // 00000000A3E0: D86C8B00 48000004
	ds_read_b32 v73, v4 offset:39936                           // 00000000A3E8: D86C9C00 49000004
	ds_read_b32 v74, v4 offset:35616                           // 00000000A3F0: D86C8B20 4A000004
	ds_read_b32 v75, v4 offset:39968                           // 00000000A3F8: D86C9C20 4B000004
	ds_read_b32 v76, v4 offset:35648                           // 00000000A400: D86C8B40 4C000004
	ds_read_b32 v77, v4 offset:40000                           // 00000000A408: D86C9C40 4D000004
	ds_read_b32 v78, v4 offset:35680                           // 00000000A410: D86C8B60 4E000004
	ds_read_b32 v79, v4 offset:40032                           // 00000000A418: D86C9C60 4F000004
	s_waitcnt lgkmcnt(0)                                       // 00000000A420: BF8CC07F
	s_mov_b64 exec, s[20:21]                                   // 00000000A424: BEFE0114
	global_atomic_pk_add_bf16 v80, v64, s[8:9]                 // 00000000A428: DD488000 00084050
	s_mov_b64 exec, s[36:37]                                   // 00000000A430: BEFE0124
	s_mov_b64 exec, s[20:21]                                   // 00000000A434: BEFE0114
	global_atomic_pk_add_bf16 v80, v65, s[8:9] offset:256      // 00000000A438: DD488100 00084150
	s_mov_b64 exec, s[36:37]                                   // 00000000A440: BEFE0124
	s_mov_b64 exec, s[22:23]                                   // 00000000A444: BEFE0116
	global_atomic_pk_add_bf16 v82, v66, s[8:9]                 // 00000000A448: DD488000 00084252
	s_mov_b64 exec, s[36:37]                                   // 00000000A450: BEFE0124
	s_mov_b64 exec, s[22:23]                                   // 00000000A454: BEFE0116
	global_atomic_pk_add_bf16 v82, v67, s[8:9] offset:256      // 00000000A458: DD488100 00084352
	s_mov_b64 exec, s[36:37]                                   // 00000000A460: BEFE0124
	s_mov_b64 exec, s[24:25]                                   // 00000000A464: BEFE0118
	global_atomic_pk_add_bf16 v84, v68, s[8:9]                 // 00000000A468: DD488000 00084454
	s_mov_b64 exec, s[36:37]                                   // 00000000A470: BEFE0124
	s_mov_b64 exec, s[24:25]                                   // 00000000A474: BEFE0118
	global_atomic_pk_add_bf16 v84, v69, s[8:9] offset:256      // 00000000A478: DD488100 00084554
	s_mov_b64 exec, s[36:37]                                   // 00000000A480: BEFE0124
	s_mov_b64 exec, s[26:27]                                   // 00000000A484: BEFE011A
	global_atomic_pk_add_bf16 v86, v70, s[8:9]                 // 00000000A488: DD488000 00084656
	s_mov_b64 exec, s[36:37]                                   // 00000000A490: BEFE0124
	s_mov_b64 exec, s[26:27]                                   // 00000000A494: BEFE011A
	global_atomic_pk_add_bf16 v86, v71, s[8:9] offset:256      // 00000000A498: DD488100 00084756
	s_mov_b64 exec, s[36:37]                                   // 00000000A4A0: BEFE0124
	s_mov_b64 exec, s[28:29]                                   // 00000000A4A4: BEFE011C
	global_atomic_pk_add_bf16 v88, v72, s[8:9]                 // 00000000A4A8: DD488000 00084858
	s_mov_b64 exec, s[36:37]                                   // 00000000A4B0: BEFE0124
	s_mov_b64 exec, s[28:29]                                   // 00000000A4B4: BEFE011C
	global_atomic_pk_add_bf16 v88, v73, s[8:9] offset:256      // 00000000A4B8: DD488100 00084958
	s_mov_b64 exec, s[36:37]                                   // 00000000A4C0: BEFE0124
	s_mov_b64 exec, s[30:31]                                   // 00000000A4C4: BEFE011E
	global_atomic_pk_add_bf16 v90, v74, s[8:9]                 // 00000000A4C8: DD488000 00084A5A
	s_mov_b64 exec, s[36:37]                                   // 00000000A4D0: BEFE0124
	s_mov_b64 exec, s[30:31]                                   // 00000000A4D4: BEFE011E
	global_atomic_pk_add_bf16 v90, v75, s[8:9] offset:256      // 00000000A4D8: DD488100 00084B5A
	s_mov_b64 exec, s[36:37]                                   // 00000000A4E0: BEFE0124
	s_mov_b64 exec, s[32:33]                                   // 00000000A4E4: BEFE0120
	global_atomic_pk_add_bf16 v92, v76, s[8:9]                 // 00000000A4E8: DD488000 00084C5C
	s_mov_b64 exec, s[36:37]                                   // 00000000A4F0: BEFE0124
	s_mov_b64 exec, s[32:33]                                   // 00000000A4F4: BEFE0120
	global_atomic_pk_add_bf16 v92, v77, s[8:9] offset:256      // 00000000A4F8: DD488100 00084D5C
	s_mov_b64 exec, s[36:37]                                   // 00000000A500: BEFE0124
	s_mov_b64 exec, s[34:35]                                   // 00000000A504: BEFE0122
	global_atomic_pk_add_bf16 v94, v78, s[8:9]                 // 00000000A508: DD488000 00084E5E
	s_mov_b64 exec, s[36:37]                                   // 00000000A510: BEFE0124
	s_mov_b64 exec, s[34:35]                                   // 00000000A514: BEFE0122
	global_atomic_pk_add_bf16 v94, v79, s[8:9] offset:256      // 00000000A518: DD488100 00084F5E
	s_mov_b64 exec, s[36:37]                                   // 00000000A520: BEFE0124
	s_add_u32 s8, s59, s8                                      // 00000000A524: 8008083B
	s_addc_u32 s9, 0, s9                                       // 00000000A528: 82090980
	s_addk_i32 s80, 0x100                                      // 00000000A52C: B7500100
	s_cmp_lt_i32 s80, s81                                      // 00000000A530: BF045150
	s_cbranch_scc0 label_2508                                  // 00000000A534: BF84067A
	s_waitcnt vmcnt(21)                                        // 00000000A538: BF8C4F75
	s_barrier                                                  // 00000000A53C: BF8A0000
	v_accvgpr_read_b32 v46, a96                                // 00000000A540: D3D8402E 18000160
	v_cvt_off_f32_i4_e32 v47, v46                              // 00000000A548: 7E5E1D2E
	v_cvt_off_f32_i4_sdwa v48, v46 dst_sel:DWORD dst_unused:UNUSED_PRESERVE src0_sel:BYTE_2// 00000000A54C: 7E601CF9 0002162E
	v_cvt_pk_fp8_f32 v50, v47, v48                             // 00000000A554: D2A20032 0002612F
	v_cvt_off_f32_i4_sdwa v47, v46 dst_sel:DWORD dst_unused:UNUSED_PRESERVE src0_sel:BYTE_1// 00000000A55C: 7E5E1CF9 0001162E
	v_cvt_off_f32_i4_sdwa v48, v46 dst_sel:DWORD dst_unused:UNUSED_PRESERVE src0_sel:BYTE_3// 00000000A564: 7E601CF9 0003162E
	v_cvt_pk_fp8_f32 v51, v47, v48                             // 00000000A56C: D2A20033 0002612F
	v_lshrrev_b32_e32 v49, 4, v46                              // 00000000A574: 20625C84
	v_cvt_off_f32_i4_e32 v47, v49                              // 00000000A578: 7E5E1D31
	v_cvt_off_f32_i4_sdwa v48, v49 dst_sel:DWORD dst_unused:UNUSED_PRESERVE src0_sel:BYTE_2// 00000000A57C: 7E601CF9 00021631
	v_cvt_pk_fp8_f32 v50, v47, v48 op_sel:[0,0,1]              // 00000000A584: D2A24032 0002612F
	v_cvt_off_f32_i4_sdwa v47, v49 dst_sel:DWORD dst_unused:UNUSED_PRESERVE src0_sel:BYTE_1// 00000000A58C: 7E5E1CF9 00011631
	v_cvt_off_f32_i4_sdwa v48, v49 dst_sel:DWORD dst_unused:UNUSED_PRESERVE src0_sel:BYTE_3// 00000000A594: 7E601CF9 00031631
	v_cvt_pk_fp8_f32 v51, v47, v48 op_sel:[0,0,1]              // 00000000A59C: D2A24033 0002612F
	v_accvgpr_write_b32 a64, v50                               // 00000000A5A4: D3D94040 18000132
	v_accvgpr_write_b32 a65, v51                               // 00000000A5AC: D3D94041 18000133
	s_nop 3                                                    // 00000000A5B4: BF800003
	v_mfma_f32_16x16x32_fp8_fp8 v[192:195], a[64:65], v[128:129], 0// 00000000A5B8: D3F300C0 0A030140
	v_accvgpr_read_b32 v46, a97                                // 00000000A5C0: D3D8402E 18000161
	v_cvt_off_f32_i4_e32 v47, v46                              // 00000000A5C8: 7E5E1D2E
	v_cvt_off_f32_i4_sdwa v48, v46 dst_sel:DWORD dst_unused:UNUSED_PRESERVE src0_sel:BYTE_2// 00000000A5CC: 7E601CF9 0002162E
	v_cvt_pk_fp8_f32 v50, v47, v48                             // 00000000A5D4: D2A20032 0002612F
	v_cvt_off_f32_i4_sdwa v47, v46 dst_sel:DWORD dst_unused:UNUSED_PRESERVE src0_sel:BYTE_1// 00000000A5DC: 7E5E1CF9 0001162E
	v_cvt_off_f32_i4_sdwa v48, v46 dst_sel:DWORD dst_unused:UNUSED_PRESERVE src0_sel:BYTE_3// 00000000A5E4: 7E601CF9 0003162E
	v_cvt_pk_fp8_f32 v51, v47, v48                             // 00000000A5EC: D2A20033 0002612F
	v_lshrrev_b32_e32 v49, 4, v46                              // 00000000A5F4: 20625C84
	v_cvt_off_f32_i4_e32 v47, v49                              // 00000000A5F8: 7E5E1D31
	v_cvt_off_f32_i4_sdwa v48, v49 dst_sel:DWORD dst_unused:UNUSED_PRESERVE src0_sel:BYTE_2// 00000000A5FC: 7E601CF9 00021631
	v_cvt_pk_fp8_f32 v50, v47, v48 op_sel:[0,0,1]              // 00000000A604: D2A24032 0002612F
	v_cvt_off_f32_i4_sdwa v47, v49 dst_sel:DWORD dst_unused:UNUSED_PRESERVE src0_sel:BYTE_1// 00000000A60C: 7E5E1CF9 00011631
	v_cvt_off_f32_i4_sdwa v48, v49 dst_sel:DWORD dst_unused:UNUSED_PRESERVE src0_sel:BYTE_3// 00000000A614: 7E601CF9 00031631
	v_cvt_pk_fp8_f32 v51, v47, v48 op_sel:[0,0,1]              // 00000000A61C: D2A24033 0002612F
	v_accvgpr_write_b32 a66, v50                               // 00000000A624: D3D94042 18000132
	v_accvgpr_write_b32 a67, v51                               // 00000000A62C: D3D94043 18000133
	s_nop 3                                                    // 00000000A634: BF800003
	v_mfma_f32_16x16x32_fp8_fp8 v[192:195], a[66:67], v[130:131], v[192:195]// 00000000A638: D3F300C0 0F030542
	buffer_load_dwordx4 a[32:35], v36, s[12:15], 0 offen       // 00000000A640: E05C1000 80832024
	v_accvgpr_read_b32 v46, a98                                // 00000000A648: D3D8402E 18000162
	v_cvt_off_f32_i4_e32 v47, v46                              // 00000000A650: 7E5E1D2E
	v_cvt_off_f32_i4_sdwa v48, v46 dst_sel:DWORD dst_unused:UNUSED_PRESERVE src0_sel:BYTE_2// 00000000A654: 7E601CF9 0002162E
	v_cvt_pk_fp8_f32 v50, v47, v48                             // 00000000A65C: D2A20032 0002612F
	v_cvt_off_f32_i4_sdwa v47, v46 dst_sel:DWORD dst_unused:UNUSED_PRESERVE src0_sel:BYTE_1// 00000000A664: 7E5E1CF9 0001162E
	v_cvt_off_f32_i4_sdwa v48, v46 dst_sel:DWORD dst_unused:UNUSED_PRESERVE src0_sel:BYTE_3// 00000000A66C: 7E601CF9 0003162E
	v_cvt_pk_fp8_f32 v51, v47, v48                             // 00000000A674: D2A20033 0002612F
	v_lshrrev_b32_e32 v49, 4, v46                              // 00000000A67C: 20625C84
	v_cvt_off_f32_i4_e32 v47, v49                              // 00000000A680: 7E5E1D31
	v_cvt_off_f32_i4_sdwa v48, v49 dst_sel:DWORD dst_unused:UNUSED_PRESERVE src0_sel:BYTE_2// 00000000A684: 7E601CF9 00021631
	v_cvt_pk_fp8_f32 v50, v47, v48 op_sel:[0,0,1]              // 00000000A68C: D2A24032 0002612F
	v_cvt_off_f32_i4_sdwa v47, v49 dst_sel:DWORD dst_unused:UNUSED_PRESERVE src0_sel:BYTE_1// 00000000A694: 7E5E1CF9 00011631
	v_cvt_off_f32_i4_sdwa v48, v49 dst_sel:DWORD dst_unused:UNUSED_PRESERVE src0_sel:BYTE_3// 00000000A69C: 7E601CF9 00031631
	v_cvt_pk_fp8_f32 v51, v47, v48 op_sel:[0,0,1]              // 00000000A6A4: D2A24033 0002612F
	v_accvgpr_write_b32 a68, v50                               // 00000000A6AC: D3D94044 18000132
	v_accvgpr_write_b32 a69, v51                               // 00000000A6B4: D3D94045 18000133
	s_nop 3                                                    // 00000000A6BC: BF800003
	v_mfma_f32_16x16x32_fp8_fp8 v[192:195], a[68:69], v[132:133], v[192:195]// 00000000A6C0: D3F300C0 0F030944
	v_accvgpr_read_b32 v46, a99                                // 00000000A6C8: D3D8402E 18000163
	v_cvt_off_f32_i4_e32 v47, v46                              // 00000000A6D0: 7E5E1D2E
	v_cvt_off_f32_i4_sdwa v48, v46 dst_sel:DWORD dst_unused:UNUSED_PRESERVE src0_sel:BYTE_2// 00000000A6D4: 7E601CF9 0002162E
	v_cvt_pk_fp8_f32 v50, v47, v48                             // 00000000A6DC: D2A20032 0002612F
	v_cvt_off_f32_i4_sdwa v47, v46 dst_sel:DWORD dst_unused:UNUSED_PRESERVE src0_sel:BYTE_1// 00000000A6E4: 7E5E1CF9 0001162E
	v_cvt_off_f32_i4_sdwa v48, v46 dst_sel:DWORD dst_unused:UNUSED_PRESERVE src0_sel:BYTE_3// 00000000A6EC: 7E601CF9 0003162E
	v_cvt_pk_fp8_f32 v51, v47, v48                             // 00000000A6F4: D2A20033 0002612F
	v_lshrrev_b32_e32 v49, 4, v46                              // 00000000A6FC: 20625C84
	v_cvt_off_f32_i4_e32 v47, v49                              // 00000000A700: 7E5E1D31
	v_cvt_off_f32_i4_sdwa v48, v49 dst_sel:DWORD dst_unused:UNUSED_PRESERVE src0_sel:BYTE_2// 00000000A704: 7E601CF9 00021631
	v_cvt_pk_fp8_f32 v50, v47, v48 op_sel:[0,0,1]              // 00000000A70C: D2A24032 0002612F
	v_cvt_off_f32_i4_sdwa v47, v49 dst_sel:DWORD dst_unused:UNUSED_PRESERVE src0_sel:BYTE_1// 00000000A714: 7E5E1CF9 00011631
	v_cvt_off_f32_i4_sdwa v48, v49 dst_sel:DWORD dst_unused:UNUSED_PRESERVE src0_sel:BYTE_3// 00000000A71C: 7E601CF9 00031631
	v_cvt_pk_fp8_f32 v51, v47, v48 op_sel:[0,0,1]              // 00000000A724: D2A24033 0002612F
	v_accvgpr_write_b32 a70, v50                               // 00000000A72C: D3D94046 18000132
	v_accvgpr_write_b32 a71, v51                               // 00000000A734: D3D94047 18000133
	s_nop 3                                                    // 00000000A73C: BF800003
	v_mfma_f32_16x16x32_fp8_fp8 v[192:195], a[70:71], v[134:135], v[192:195]// 00000000A740: D3F300C0 0F030D46
	v_mfma_f32_16x16x32_fp8_fp8 v[196:199], a[64:65], v[144:145], 0// 00000000A748: D3F300C4 0A032140
	v_mfma_f32_16x16x32_fp8_fp8 v[196:199], a[66:67], v[146:147], v[196:199]// 00000000A750: D3F300C4 0F132542
	v_mfma_f32_16x16x32_fp8_fp8 v[196:199], a[68:69], v[148:149], v[196:199]// 00000000A758: D3F300C4 0F132944
	v_mfma_f32_16x16x32_fp8_fp8 v[196:199], a[70:71], v[150:151], v[196:199]// 00000000A760: D3F300C4 0F132D46
	v_accvgpr_read_b32 v46, a100                               // 00000000A768: D3D8402E 18000164
	v_cvt_off_f32_i4_e32 v47, v46                              // 00000000A770: 7E5E1D2E
	v_cvt_off_f32_i4_sdwa v48, v46 dst_sel:DWORD dst_unused:UNUSED_PRESERVE src0_sel:BYTE_2// 00000000A774: 7E601CF9 0002162E
	v_cvt_pk_fp8_f32 v50, v47, v48                             // 00000000A77C: D2A20032 0002612F
	v_cvt_off_f32_i4_sdwa v47, v46 dst_sel:DWORD dst_unused:UNUSED_PRESERVE src0_sel:BYTE_1// 00000000A784: 7E5E1CF9 0001162E
	v_cvt_off_f32_i4_sdwa v48, v46 dst_sel:DWORD dst_unused:UNUSED_PRESERVE src0_sel:BYTE_3// 00000000A78C: 7E601CF9 0003162E
	v_cvt_pk_fp8_f32 v51, v47, v48                             // 00000000A794: D2A20033 0002612F
	v_lshrrev_b32_e32 v49, 4, v46                              // 00000000A79C: 20625C84
	v_cvt_off_f32_i4_e32 v47, v49                              // 00000000A7A0: 7E5E1D31
	v_cvt_off_f32_i4_sdwa v48, v49 dst_sel:DWORD dst_unused:UNUSED_PRESERVE src0_sel:BYTE_2// 00000000A7A4: 7E601CF9 00021631
	v_cvt_pk_fp8_f32 v50, v47, v48 op_sel:[0,0,1]              // 00000000A7AC: D2A24032 0002612F
	v_cvt_off_f32_i4_sdwa v47, v49 dst_sel:DWORD dst_unused:UNUSED_PRESERVE src0_sel:BYTE_1// 00000000A7B4: 7E5E1CF9 00011631
	v_cvt_off_f32_i4_sdwa v48, v49 dst_sel:DWORD dst_unused:UNUSED_PRESERVE src0_sel:BYTE_3// 00000000A7BC: 7E601CF9 00031631
	v_cvt_pk_fp8_f32 v51, v47, v48 op_sel:[0,0,1]              // 00000000A7C4: D2A24033 0002612F
	v_accvgpr_write_b32 a72, v50                               // 00000000A7CC: D3D94048 18000132
	v_accvgpr_write_b32 a73, v51                               // 00000000A7D4: D3D94049 18000133
	s_nop 3                                                    // 00000000A7DC: BF800003
	v_mfma_f32_16x16x32_fp8_fp8 v[200:203], a[72:73], v[128:129], 0// 00000000A7E0: D3F300C8 0A030148
	v_accvgpr_read_b32 v46, a101                               // 00000000A7E8: D3D8402E 18000165
	v_cvt_off_f32_i4_e32 v47, v46                              // 00000000A7F0: 7E5E1D2E
	v_cvt_off_f32_i4_sdwa v48, v46 dst_sel:DWORD dst_unused:UNUSED_PRESERVE src0_sel:BYTE_2// 00000000A7F4: 7E601CF9 0002162E
	v_cvt_pk_fp8_f32 v50, v47, v48                             // 00000000A7FC: D2A20032 0002612F
	v_cvt_off_f32_i4_sdwa v47, v46 dst_sel:DWORD dst_unused:UNUSED_PRESERVE src0_sel:BYTE_1// 00000000A804: 7E5E1CF9 0001162E
	v_cvt_off_f32_i4_sdwa v48, v46 dst_sel:DWORD dst_unused:UNUSED_PRESERVE src0_sel:BYTE_3// 00000000A80C: 7E601CF9 0003162E
	v_cvt_pk_fp8_f32 v51, v47, v48                             // 00000000A814: D2A20033 0002612F
	v_lshrrev_b32_e32 v49, 4, v46                              // 00000000A81C: 20625C84
	v_cvt_off_f32_i4_e32 v47, v49                              // 00000000A820: 7E5E1D31
	v_cvt_off_f32_i4_sdwa v48, v49 dst_sel:DWORD dst_unused:UNUSED_PRESERVE src0_sel:BYTE_2// 00000000A824: 7E601CF9 00021631
	v_cvt_pk_fp8_f32 v50, v47, v48 op_sel:[0,0,1]              // 00000000A82C: D2A24032 0002612F
	v_cvt_off_f32_i4_sdwa v47, v49 dst_sel:DWORD dst_unused:UNUSED_PRESERVE src0_sel:BYTE_1// 00000000A834: 7E5E1CF9 00011631
	v_cvt_off_f32_i4_sdwa v48, v49 dst_sel:DWORD dst_unused:UNUSED_PRESERVE src0_sel:BYTE_3// 00000000A83C: 7E601CF9 00031631
	v_cvt_pk_fp8_f32 v51, v47, v48 op_sel:[0,0,1]              // 00000000A844: D2A24033 0002612F
	v_accvgpr_write_b32 a74, v50                               // 00000000A84C: D3D9404A 18000132
	v_accvgpr_write_b32 a75, v51                               // 00000000A854: D3D9404B 18000133
	s_nop 3                                                    // 00000000A85C: BF800003
	v_mfma_f32_16x16x32_fp8_fp8 v[200:203], a[74:75], v[130:131], v[200:203]// 00000000A860: D3F300C8 0F23054A
	buffer_load_dwordx4 a[36:39], v37, s[12:15], 0 offen       // 00000000A868: E05C1000 80832425
	v_accvgpr_read_b32 v46, a102                               // 00000000A870: D3D8402E 18000166
	v_cvt_off_f32_i4_e32 v47, v46                              // 00000000A878: 7E5E1D2E
	v_cvt_off_f32_i4_sdwa v48, v46 dst_sel:DWORD dst_unused:UNUSED_PRESERVE src0_sel:BYTE_2// 00000000A87C: 7E601CF9 0002162E
	v_cvt_pk_fp8_f32 v50, v47, v48                             // 00000000A884: D2A20032 0002612F
	v_cvt_off_f32_i4_sdwa v47, v46 dst_sel:DWORD dst_unused:UNUSED_PRESERVE src0_sel:BYTE_1// 00000000A88C: 7E5E1CF9 0001162E
	v_cvt_off_f32_i4_sdwa v48, v46 dst_sel:DWORD dst_unused:UNUSED_PRESERVE src0_sel:BYTE_3// 00000000A894: 7E601CF9 0003162E
	v_cvt_pk_fp8_f32 v51, v47, v48                             // 00000000A89C: D2A20033 0002612F
	v_lshrrev_b32_e32 v49, 4, v46                              // 00000000A8A4: 20625C84
	v_cvt_off_f32_i4_e32 v47, v49                              // 00000000A8A8: 7E5E1D31
	v_cvt_off_f32_i4_sdwa v48, v49 dst_sel:DWORD dst_unused:UNUSED_PRESERVE src0_sel:BYTE_2// 00000000A8AC: 7E601CF9 00021631
	v_cvt_pk_fp8_f32 v50, v47, v48 op_sel:[0,0,1]              // 00000000A8B4: D2A24032 0002612F
	v_cvt_off_f32_i4_sdwa v47, v49 dst_sel:DWORD dst_unused:UNUSED_PRESERVE src0_sel:BYTE_1// 00000000A8BC: 7E5E1CF9 00011631
	v_cvt_off_f32_i4_sdwa v48, v49 dst_sel:DWORD dst_unused:UNUSED_PRESERVE src0_sel:BYTE_3// 00000000A8C4: 7E601CF9 00031631
	v_cvt_pk_fp8_f32 v51, v47, v48 op_sel:[0,0,1]              // 00000000A8CC: D2A24033 0002612F
	v_accvgpr_write_b32 a76, v50                               // 00000000A8D4: D3D9404C 18000132
	v_accvgpr_write_b32 a77, v51                               // 00000000A8DC: D3D9404D 18000133
	s_nop 3                                                    // 00000000A8E4: BF800003
	v_mfma_f32_16x16x32_fp8_fp8 v[200:203], a[76:77], v[132:133], v[200:203]// 00000000A8E8: D3F300C8 0F23094C
	v_accvgpr_read_b32 v46, a103                               // 00000000A8F0: D3D8402E 18000167
	v_cvt_off_f32_i4_e32 v47, v46                              // 00000000A8F8: 7E5E1D2E
	v_cvt_off_f32_i4_sdwa v48, v46 dst_sel:DWORD dst_unused:UNUSED_PRESERVE src0_sel:BYTE_2// 00000000A8FC: 7E601CF9 0002162E
	v_cvt_pk_fp8_f32 v50, v47, v48                             // 00000000A904: D2A20032 0002612F
	v_cvt_off_f32_i4_sdwa v47, v46 dst_sel:DWORD dst_unused:UNUSED_PRESERVE src0_sel:BYTE_1// 00000000A90C: 7E5E1CF9 0001162E
	v_cvt_off_f32_i4_sdwa v48, v46 dst_sel:DWORD dst_unused:UNUSED_PRESERVE src0_sel:BYTE_3// 00000000A914: 7E601CF9 0003162E
	v_cvt_pk_fp8_f32 v51, v47, v48                             // 00000000A91C: D2A20033 0002612F
	v_lshrrev_b32_e32 v49, 4, v46                              // 00000000A924: 20625C84
	v_cvt_off_f32_i4_e32 v47, v49                              // 00000000A928: 7E5E1D31
	v_cvt_off_f32_i4_sdwa v48, v49 dst_sel:DWORD dst_unused:UNUSED_PRESERVE src0_sel:BYTE_2// 00000000A92C: 7E601CF9 00021631
	v_cvt_pk_fp8_f32 v50, v47, v48 op_sel:[0,0,1]              // 00000000A934: D2A24032 0002612F
	v_cvt_off_f32_i4_sdwa v47, v49 dst_sel:DWORD dst_unused:UNUSED_PRESERVE src0_sel:BYTE_1// 00000000A93C: 7E5E1CF9 00011631
	v_cvt_off_f32_i4_sdwa v48, v49 dst_sel:DWORD dst_unused:UNUSED_PRESERVE src0_sel:BYTE_3// 00000000A944: 7E601CF9 00031631
	v_cvt_pk_fp8_f32 v51, v47, v48 op_sel:[0,0,1]              // 00000000A94C: D2A24033 0002612F
	v_accvgpr_write_b32 a78, v50                               // 00000000A954: D3D9404E 18000132
	v_accvgpr_write_b32 a79, v51                               // 00000000A95C: D3D9404F 18000133
	s_nop 3                                                    // 00000000A964: BF800003
	v_mfma_f32_16x16x32_fp8_fp8 v[200:203], a[78:79], v[134:135], v[200:203]// 00000000A968: D3F300C8 0F230D4E
	v_mfma_f32_16x16x32_fp8_fp8 v[204:207], a[72:73], v[144:145], 0// 00000000A970: D3F300CC 0A032148
	v_mfma_f32_16x16x32_fp8_fp8 v[204:207], a[74:75], v[146:147], v[204:207]// 00000000A978: D3F300CC 0F33254A
	v_mfma_f32_16x16x32_fp8_fp8 v[204:207], a[76:77], v[148:149], v[204:207]// 00000000A980: D3F300CC 0F33294C
	v_mfma_f32_16x16x32_fp8_fp8 v[204:207], a[78:79], v[150:151], v[204:207]// 00000000A988: D3F300CC 0F332D4E
	v_accvgpr_read_b32 v46, a104                               // 00000000A990: D3D8402E 18000168
	v_cvt_off_f32_i4_e32 v47, v46                              // 00000000A998: 7E5E1D2E
	v_cvt_off_f32_i4_sdwa v48, v46 dst_sel:DWORD dst_unused:UNUSED_PRESERVE src0_sel:BYTE_2// 00000000A99C: 7E601CF9 0002162E
	v_cvt_pk_fp8_f32 v50, v47, v48                             // 00000000A9A4: D2A20032 0002612F
	v_cvt_off_f32_i4_sdwa v47, v46 dst_sel:DWORD dst_unused:UNUSED_PRESERVE src0_sel:BYTE_1// 00000000A9AC: 7E5E1CF9 0001162E
	v_cvt_off_f32_i4_sdwa v48, v46 dst_sel:DWORD dst_unused:UNUSED_PRESERVE src0_sel:BYTE_3// 00000000A9B4: 7E601CF9 0003162E
	v_cvt_pk_fp8_f32 v51, v47, v48                             // 00000000A9BC: D2A20033 0002612F
	v_lshrrev_b32_e32 v49, 4, v46                              // 00000000A9C4: 20625C84
	v_cvt_off_f32_i4_e32 v47, v49                              // 00000000A9C8: 7E5E1D31
	v_cvt_off_f32_i4_sdwa v48, v49 dst_sel:DWORD dst_unused:UNUSED_PRESERVE src0_sel:BYTE_2// 00000000A9CC: 7E601CF9 00021631
	v_cvt_pk_fp8_f32 v50, v47, v48 op_sel:[0,0,1]              // 00000000A9D4: D2A24032 0002612F
	v_cvt_off_f32_i4_sdwa v47, v49 dst_sel:DWORD dst_unused:UNUSED_PRESERVE src0_sel:BYTE_1// 00000000A9DC: 7E5E1CF9 00011631
	v_cvt_off_f32_i4_sdwa v48, v49 dst_sel:DWORD dst_unused:UNUSED_PRESERVE src0_sel:BYTE_3// 00000000A9E4: 7E601CF9 00031631
	v_cvt_pk_fp8_f32 v51, v47, v48 op_sel:[0,0,1]              // 00000000A9EC: D2A24033 0002612F
	v_accvgpr_write_b32 a80, v50                               // 00000000A9F4: D3D94050 18000132
	v_accvgpr_write_b32 a81, v51                               // 00000000A9FC: D3D94051 18000133
	s_nop 3                                                    // 00000000AA04: BF800003
	v_mfma_f32_16x16x32_fp8_fp8 v[208:211], a[80:81], v[128:129], 0// 00000000AA08: D3F300D0 0A030150
	v_accvgpr_read_b32 v46, a105                               // 00000000AA10: D3D8402E 18000169
	v_cvt_off_f32_i4_e32 v47, v46                              // 00000000AA18: 7E5E1D2E
	v_cvt_off_f32_i4_sdwa v48, v46 dst_sel:DWORD dst_unused:UNUSED_PRESERVE src0_sel:BYTE_2// 00000000AA1C: 7E601CF9 0002162E
	v_cvt_pk_fp8_f32 v50, v47, v48                             // 00000000AA24: D2A20032 0002612F
	v_cvt_off_f32_i4_sdwa v47, v46 dst_sel:DWORD dst_unused:UNUSED_PRESERVE src0_sel:BYTE_1// 00000000AA2C: 7E5E1CF9 0001162E
	v_cvt_off_f32_i4_sdwa v48, v46 dst_sel:DWORD dst_unused:UNUSED_PRESERVE src0_sel:BYTE_3// 00000000AA34: 7E601CF9 0003162E
	v_cvt_pk_fp8_f32 v51, v47, v48                             // 00000000AA3C: D2A20033 0002612F
	v_lshrrev_b32_e32 v49, 4, v46                              // 00000000AA44: 20625C84
	v_cvt_off_f32_i4_e32 v47, v49                              // 00000000AA48: 7E5E1D31
	v_cvt_off_f32_i4_sdwa v48, v49 dst_sel:DWORD dst_unused:UNUSED_PRESERVE src0_sel:BYTE_2// 00000000AA4C: 7E601CF9 00021631
	v_cvt_pk_fp8_f32 v50, v47, v48 op_sel:[0,0,1]              // 00000000AA54: D2A24032 0002612F
	v_cvt_off_f32_i4_sdwa v47, v49 dst_sel:DWORD dst_unused:UNUSED_PRESERVE src0_sel:BYTE_1// 00000000AA5C: 7E5E1CF9 00011631
	v_cvt_off_f32_i4_sdwa v48, v49 dst_sel:DWORD dst_unused:UNUSED_PRESERVE src0_sel:BYTE_3// 00000000AA64: 7E601CF9 00031631
	v_cvt_pk_fp8_f32 v51, v47, v48 op_sel:[0,0,1]              // 00000000AA6C: D2A24033 0002612F
	v_accvgpr_write_b32 a82, v50                               // 00000000AA74: D3D94052 18000132
	v_accvgpr_write_b32 a83, v51                               // 00000000AA7C: D3D94053 18000133
	s_nop 3                                                    // 00000000AA84: BF800003
	v_mfma_f32_16x16x32_fp8_fp8 v[208:211], a[82:83], v[130:131], v[208:211]// 00000000AA88: D3F300D0 0F430552
	buffer_load_dwordx4 a[40:43], v38, s[12:15], 0 offen       // 00000000AA90: E05C1000 80832826
	v_accvgpr_read_b32 v46, a106                               // 00000000AA98: D3D8402E 1800016A
	v_cvt_off_f32_i4_e32 v47, v46                              // 00000000AAA0: 7E5E1D2E
	v_cvt_off_f32_i4_sdwa v48, v46 dst_sel:DWORD dst_unused:UNUSED_PRESERVE src0_sel:BYTE_2// 00000000AAA4: 7E601CF9 0002162E
	v_cvt_pk_fp8_f32 v50, v47, v48                             // 00000000AAAC: D2A20032 0002612F
	v_cvt_off_f32_i4_sdwa v47, v46 dst_sel:DWORD dst_unused:UNUSED_PRESERVE src0_sel:BYTE_1// 00000000AAB4: 7E5E1CF9 0001162E
	v_cvt_off_f32_i4_sdwa v48, v46 dst_sel:DWORD dst_unused:UNUSED_PRESERVE src0_sel:BYTE_3// 00000000AABC: 7E601CF9 0003162E
	v_cvt_pk_fp8_f32 v51, v47, v48                             // 00000000AAC4: D2A20033 0002612F
	v_lshrrev_b32_e32 v49, 4, v46                              // 00000000AACC: 20625C84
	v_cvt_off_f32_i4_e32 v47, v49                              // 00000000AAD0: 7E5E1D31
	v_cvt_off_f32_i4_sdwa v48, v49 dst_sel:DWORD dst_unused:UNUSED_PRESERVE src0_sel:BYTE_2// 00000000AAD4: 7E601CF9 00021631
	v_cvt_pk_fp8_f32 v50, v47, v48 op_sel:[0,0,1]              // 00000000AADC: D2A24032 0002612F
	v_cvt_off_f32_i4_sdwa v47, v49 dst_sel:DWORD dst_unused:UNUSED_PRESERVE src0_sel:BYTE_1// 00000000AAE4: 7E5E1CF9 00011631
	v_cvt_off_f32_i4_sdwa v48, v49 dst_sel:DWORD dst_unused:UNUSED_PRESERVE src0_sel:BYTE_3// 00000000AAEC: 7E601CF9 00031631
	v_cvt_pk_fp8_f32 v51, v47, v48 op_sel:[0,0,1]              // 00000000AAF4: D2A24033 0002612F
	v_accvgpr_write_b32 a84, v50                               // 00000000AAFC: D3D94054 18000132
	v_accvgpr_write_b32 a85, v51                               // 00000000AB04: D3D94055 18000133
	s_nop 3                                                    // 00000000AB0C: BF800003
	v_mfma_f32_16x16x32_fp8_fp8 v[208:211], a[84:85], v[132:133], v[208:211]// 00000000AB10: D3F300D0 0F430954
	v_accvgpr_read_b32 v46, a107                               // 00000000AB18: D3D8402E 1800016B
	v_cvt_off_f32_i4_e32 v47, v46                              // 00000000AB20: 7E5E1D2E
	v_cvt_off_f32_i4_sdwa v48, v46 dst_sel:DWORD dst_unused:UNUSED_PRESERVE src0_sel:BYTE_2// 00000000AB24: 7E601CF9 0002162E
	v_cvt_pk_fp8_f32 v50, v47, v48                             // 00000000AB2C: D2A20032 0002612F
	v_cvt_off_f32_i4_sdwa v47, v46 dst_sel:DWORD dst_unused:UNUSED_PRESERVE src0_sel:BYTE_1// 00000000AB34: 7E5E1CF9 0001162E
	v_cvt_off_f32_i4_sdwa v48, v46 dst_sel:DWORD dst_unused:UNUSED_PRESERVE src0_sel:BYTE_3// 00000000AB3C: 7E601CF9 0003162E
	v_cvt_pk_fp8_f32 v51, v47, v48                             // 00000000AB44: D2A20033 0002612F
	v_lshrrev_b32_e32 v49, 4, v46                              // 00000000AB4C: 20625C84
	v_cvt_off_f32_i4_e32 v47, v49                              // 00000000AB50: 7E5E1D31
	v_cvt_off_f32_i4_sdwa v48, v49 dst_sel:DWORD dst_unused:UNUSED_PRESERVE src0_sel:BYTE_2// 00000000AB54: 7E601CF9 00021631
	v_cvt_pk_fp8_f32 v50, v47, v48 op_sel:[0,0,1]              // 00000000AB5C: D2A24032 0002612F
	v_cvt_off_f32_i4_sdwa v47, v49 dst_sel:DWORD dst_unused:UNUSED_PRESERVE src0_sel:BYTE_1// 00000000AB64: 7E5E1CF9 00011631
	v_cvt_off_f32_i4_sdwa v48, v49 dst_sel:DWORD dst_unused:UNUSED_PRESERVE src0_sel:BYTE_3// 00000000AB6C: 7E601CF9 00031631
	v_cvt_pk_fp8_f32 v51, v47, v48 op_sel:[0,0,1]              // 00000000AB74: D2A24033 0002612F
	v_accvgpr_write_b32 a86, v50                               // 00000000AB7C: D3D94056 18000132
	v_accvgpr_write_b32 a87, v51                               // 00000000AB84: D3D94057 18000133
	s_nop 3                                                    // 00000000AB8C: BF800003
	v_mfma_f32_16x16x32_fp8_fp8 v[208:211], a[86:87], v[134:135], v[208:211]// 00000000AB90: D3F300D0 0F430D56
	buffer_load_dword v11, v5, s[16:19], 0 offen               // 00000000AB98: E0501000 80040B05
	v_mfma_f32_16x16x32_fp8_fp8 v[212:215], a[80:81], v[144:145], 0// 00000000ABA0: D3F300D4 0A032150
	v_mfma_f32_16x16x32_fp8_fp8 v[212:215], a[82:83], v[146:147], v[212:215]// 00000000ABA8: D3F300D4 0F532552
	v_mfma_f32_16x16x32_fp8_fp8 v[212:215], a[84:85], v[148:149], v[212:215]// 00000000ABB0: D3F300D4 0F532954
	v_mfma_f32_16x16x32_fp8_fp8 v[212:215], a[86:87], v[150:151], v[212:215]// 00000000ABB8: D3F300D4 0F532D56
	v_accvgpr_read_b32 v46, a108                               // 00000000ABC0: D3D8402E 1800016C
	v_cvt_off_f32_i4_e32 v47, v46                              // 00000000ABC8: 7E5E1D2E
	v_cvt_off_f32_i4_sdwa v48, v46 dst_sel:DWORD dst_unused:UNUSED_PRESERVE src0_sel:BYTE_2// 00000000ABCC: 7E601CF9 0002162E
	v_cvt_pk_fp8_f32 v50, v47, v48                             // 00000000ABD4: D2A20032 0002612F
	v_cvt_off_f32_i4_sdwa v47, v46 dst_sel:DWORD dst_unused:UNUSED_PRESERVE src0_sel:BYTE_1// 00000000ABDC: 7E5E1CF9 0001162E
	v_cvt_off_f32_i4_sdwa v48, v46 dst_sel:DWORD dst_unused:UNUSED_PRESERVE src0_sel:BYTE_3// 00000000ABE4: 7E601CF9 0003162E
	v_cvt_pk_fp8_f32 v51, v47, v48                             // 00000000ABEC: D2A20033 0002612F
	v_lshrrev_b32_e32 v49, 4, v46                              // 00000000ABF4: 20625C84
	v_cvt_off_f32_i4_e32 v47, v49                              // 00000000ABF8: 7E5E1D31
	v_cvt_off_f32_i4_sdwa v48, v49 dst_sel:DWORD dst_unused:UNUSED_PRESERVE src0_sel:BYTE_2// 00000000ABFC: 7E601CF9 00021631
	v_cvt_pk_fp8_f32 v50, v47, v48 op_sel:[0,0,1]              // 00000000AC04: D2A24032 0002612F
	v_cvt_off_f32_i4_sdwa v47, v49 dst_sel:DWORD dst_unused:UNUSED_PRESERVE src0_sel:BYTE_1// 00000000AC0C: 7E5E1CF9 00011631
	v_cvt_off_f32_i4_sdwa v48, v49 dst_sel:DWORD dst_unused:UNUSED_PRESERVE src0_sel:BYTE_3// 00000000AC14: 7E601CF9 00031631
	v_cvt_pk_fp8_f32 v51, v47, v48 op_sel:[0,0,1]              // 00000000AC1C: D2A24033 0002612F
	v_accvgpr_write_b32 a88, v50                               // 00000000AC24: D3D94058 18000132
	v_accvgpr_write_b32 a89, v51                               // 00000000AC2C: D3D94059 18000133
	s_nop 3                                                    // 00000000AC34: BF800003
	v_mfma_f32_16x16x32_fp8_fp8 v[216:219], a[88:89], v[128:129], 0// 00000000AC38: D3F300D8 0A030158
	v_accvgpr_read_b32 v46, a109                               // 00000000AC40: D3D8402E 1800016D
	v_cvt_off_f32_i4_e32 v47, v46                              // 00000000AC48: 7E5E1D2E
	v_cvt_off_f32_i4_sdwa v48, v46 dst_sel:DWORD dst_unused:UNUSED_PRESERVE src0_sel:BYTE_2// 00000000AC4C: 7E601CF9 0002162E
	v_cvt_pk_fp8_f32 v50, v47, v48                             // 00000000AC54: D2A20032 0002612F
	v_cvt_off_f32_i4_sdwa v47, v46 dst_sel:DWORD dst_unused:UNUSED_PRESERVE src0_sel:BYTE_1// 00000000AC5C: 7E5E1CF9 0001162E
	v_cvt_off_f32_i4_sdwa v48, v46 dst_sel:DWORD dst_unused:UNUSED_PRESERVE src0_sel:BYTE_3// 00000000AC64: 7E601CF9 0003162E
	v_cvt_pk_fp8_f32 v51, v47, v48                             // 00000000AC6C: D2A20033 0002612F
	v_lshrrev_b32_e32 v49, 4, v46                              // 00000000AC74: 20625C84
	v_cvt_off_f32_i4_e32 v47, v49                              // 00000000AC78: 7E5E1D31
	v_cvt_off_f32_i4_sdwa v48, v49 dst_sel:DWORD dst_unused:UNUSED_PRESERVE src0_sel:BYTE_2// 00000000AC7C: 7E601CF9 00021631
	v_cvt_pk_fp8_f32 v50, v47, v48 op_sel:[0,0,1]              // 00000000AC84: D2A24032 0002612F
	v_cvt_off_f32_i4_sdwa v47, v49 dst_sel:DWORD dst_unused:UNUSED_PRESERVE src0_sel:BYTE_1// 00000000AC8C: 7E5E1CF9 00011631
	v_cvt_off_f32_i4_sdwa v48, v49 dst_sel:DWORD dst_unused:UNUSED_PRESERVE src0_sel:BYTE_3// 00000000AC94: 7E601CF9 00031631
	v_cvt_pk_fp8_f32 v51, v47, v48 op_sel:[0,0,1]              // 00000000AC9C: D2A24033 0002612F
	v_accvgpr_write_b32 a90, v50                               // 00000000ACA4: D3D9405A 18000132
	v_accvgpr_write_b32 a91, v51                               // 00000000ACAC: D3D9405B 18000133
	s_nop 3                                                    // 00000000ACB4: BF800003
	v_mfma_f32_16x16x32_fp8_fp8 v[216:219], a[90:91], v[130:131], v[216:219]// 00000000ACB8: D3F300D8 0F63055A
	buffer_load_dwordx4 a[44:47], v39, s[12:15], 0 offen       // 00000000ACC0: E05C1000 80832C27
	s_add_u32 s12, s78, s12                                    // 00000000ACC8: 800C0C4E
	s_addc_u32 s13, 0, s13                                     // 00000000ACCC: 820D0D80
	v_accvgpr_read_b32 v46, a110                               // 00000000ACD0: D3D8402E 1800016E
	v_cvt_off_f32_i4_e32 v47, v46                              // 00000000ACD8: 7E5E1D2E
	v_cvt_off_f32_i4_sdwa v48, v46 dst_sel:DWORD dst_unused:UNUSED_PRESERVE src0_sel:BYTE_2// 00000000ACDC: 7E601CF9 0002162E
	v_cvt_pk_fp8_f32 v50, v47, v48                             // 00000000ACE4: D2A20032 0002612F
	v_cvt_off_f32_i4_sdwa v47, v46 dst_sel:DWORD dst_unused:UNUSED_PRESERVE src0_sel:BYTE_1// 00000000ACEC: 7E5E1CF9 0001162E
	v_cvt_off_f32_i4_sdwa v48, v46 dst_sel:DWORD dst_unused:UNUSED_PRESERVE src0_sel:BYTE_3// 00000000ACF4: 7E601CF9 0003162E
	v_cvt_pk_fp8_f32 v51, v47, v48                             // 00000000ACFC: D2A20033 0002612F
	v_lshrrev_b32_e32 v49, 4, v46                              // 00000000AD04: 20625C84
	v_cvt_off_f32_i4_e32 v47, v49                              // 00000000AD08: 7E5E1D31
	v_cvt_off_f32_i4_sdwa v48, v49 dst_sel:DWORD dst_unused:UNUSED_PRESERVE src0_sel:BYTE_2// 00000000AD0C: 7E601CF9 00021631
	v_cvt_pk_fp8_f32 v50, v47, v48 op_sel:[0,0,1]              // 00000000AD14: D2A24032 0002612F
	v_cvt_off_f32_i4_sdwa v47, v49 dst_sel:DWORD dst_unused:UNUSED_PRESERVE src0_sel:BYTE_1// 00000000AD1C: 7E5E1CF9 00011631
	v_cvt_off_f32_i4_sdwa v48, v49 dst_sel:DWORD dst_unused:UNUSED_PRESERVE src0_sel:BYTE_3// 00000000AD24: 7E601CF9 00031631
	v_cvt_pk_fp8_f32 v51, v47, v48 op_sel:[0,0,1]              // 00000000AD2C: D2A24033 0002612F
	v_accvgpr_write_b32 a92, v50                               // 00000000AD34: D3D9405C 18000132
	v_accvgpr_write_b32 a93, v51                               // 00000000AD3C: D3D9405D 18000133
	s_nop 3                                                    // 00000000AD44: BF800003
	v_mfma_f32_16x16x32_fp8_fp8 v[216:219], a[92:93], v[132:133], v[216:219]// 00000000AD48: D3F300D8 0F63095C
	v_accvgpr_read_b32 v46, a111                               // 00000000AD50: D3D8402E 1800016F
	v_cvt_off_f32_i4_e32 v47, v46                              // 00000000AD58: 7E5E1D2E
	v_cvt_off_f32_i4_sdwa v48, v46 dst_sel:DWORD dst_unused:UNUSED_PRESERVE src0_sel:BYTE_2// 00000000AD5C: 7E601CF9 0002162E
	v_cvt_pk_fp8_f32 v50, v47, v48                             // 00000000AD64: D2A20032 0002612F
	v_cvt_off_f32_i4_sdwa v47, v46 dst_sel:DWORD dst_unused:UNUSED_PRESERVE src0_sel:BYTE_1// 00000000AD6C: 7E5E1CF9 0001162E
	v_cvt_off_f32_i4_sdwa v48, v46 dst_sel:DWORD dst_unused:UNUSED_PRESERVE src0_sel:BYTE_3// 00000000AD74: 7E601CF9 0003162E
	v_cvt_pk_fp8_f32 v51, v47, v48                             // 00000000AD7C: D2A20033 0002612F
	v_lshrrev_b32_e32 v49, 4, v46                              // 00000000AD84: 20625C84
	v_cvt_off_f32_i4_e32 v47, v49                              // 00000000AD88: 7E5E1D31
	v_cvt_off_f32_i4_sdwa v48, v49 dst_sel:DWORD dst_unused:UNUSED_PRESERVE src0_sel:BYTE_2// 00000000AD8C: 7E601CF9 00021631
	v_cvt_pk_fp8_f32 v50, v47, v48 op_sel:[0,0,1]              // 00000000AD94: D2A24032 0002612F
	v_cvt_off_f32_i4_sdwa v47, v49 dst_sel:DWORD dst_unused:UNUSED_PRESERVE src0_sel:BYTE_1// 00000000AD9C: 7E5E1CF9 00011631
	v_cvt_off_f32_i4_sdwa v48, v49 dst_sel:DWORD dst_unused:UNUSED_PRESERVE src0_sel:BYTE_3// 00000000ADA4: 7E601CF9 00031631
	v_cvt_pk_fp8_f32 v51, v47, v48 op_sel:[0,0,1]              // 00000000ADAC: D2A24033 0002612F
	v_accvgpr_write_b32 a94, v50                               // 00000000ADB4: D3D9405E 18000132
	v_accvgpr_write_b32 a95, v51                               // 00000000ADBC: D3D9405F 18000133
	s_nop 3                                                    // 00000000ADC4: BF800003
	v_mfma_f32_16x16x32_fp8_fp8 v[216:219], a[94:95], v[134:135], v[216:219]// 00000000ADC8: D3F300D8 0F630D5E
	v_mfma_f32_16x16x32_fp8_fp8 v[220:223], a[88:89], v[144:145], 0// 00000000ADD0: D3F300DC 0A032158
	v_mfma_f32_16x16x32_fp8_fp8 v[220:223], a[90:91], v[146:147], v[220:223]// 00000000ADD8: D3F300DC 0F73255A
	v_mfma_f32_16x16x32_fp8_fp8 v[220:223], a[92:93], v[148:149], v[220:223]// 00000000ADE0: D3F300DC 0F73295C
	v_mfma_f32_16x16x32_fp8_fp8 v[220:223], a[94:95], v[150:151], v[220:223]// 00000000ADE8: D3F300DC 0F732D5E
	s_waitcnt vmcnt(20)                                        // 00000000ADF0: BF8C4F74
	v_accvgpr_read_b32 v46, a112                               // 00000000ADF4: D3D8402E 18000170
	v_cvt_off_f32_i4_e32 v47, v46                              // 00000000ADFC: 7E5E1D2E
	v_cvt_off_f32_i4_sdwa v48, v46 dst_sel:DWORD dst_unused:UNUSED_PRESERVE src0_sel:BYTE_2// 00000000AE00: 7E601CF9 0002162E
	v_cvt_pk_fp8_f32 v50, v47, v48                             // 00000000AE08: D2A20032 0002612F
	v_cvt_off_f32_i4_sdwa v47, v46 dst_sel:DWORD dst_unused:UNUSED_PRESERVE src0_sel:BYTE_1// 00000000AE10: 7E5E1CF9 0001162E
	v_cvt_off_f32_i4_sdwa v48, v46 dst_sel:DWORD dst_unused:UNUSED_PRESERVE src0_sel:BYTE_3// 00000000AE18: 7E601CF9 0003162E
	v_cvt_pk_fp8_f32 v51, v47, v48                             // 00000000AE20: D2A20033 0002612F
	v_lshrrev_b32_e32 v49, 4, v46                              // 00000000AE28: 20625C84
	v_cvt_off_f32_i4_e32 v47, v49                              // 00000000AE2C: 7E5E1D31
	v_cvt_off_f32_i4_sdwa v48, v49 dst_sel:DWORD dst_unused:UNUSED_PRESERVE src0_sel:BYTE_2// 00000000AE30: 7E601CF9 00021631
	v_cvt_pk_fp8_f32 v50, v47, v48 op_sel:[0,0,1]              // 00000000AE38: D2A24032 0002612F
	v_cvt_off_f32_i4_sdwa v47, v49 dst_sel:DWORD dst_unused:UNUSED_PRESERVE src0_sel:BYTE_1// 00000000AE40: 7E5E1CF9 00011631
	v_cvt_off_f32_i4_sdwa v48, v49 dst_sel:DWORD dst_unused:UNUSED_PRESERVE src0_sel:BYTE_3// 00000000AE48: 7E601CF9 00031631
	v_cvt_pk_fp8_f32 v51, v47, v48 op_sel:[0,0,1]              // 00000000AE50: D2A24033 0002612F
	v_accvgpr_write_b32 a96, v50                               // 00000000AE58: D3D94060 18000132
	v_accvgpr_write_b32 a97, v51                               // 00000000AE60: D3D94061 18000133
	s_nop 3                                                    // 00000000AE68: BF800003
	v_mfma_f32_16x16x32_fp8_fp8 v[192:195], a[96:97], v[136:137], v[192:195]// 00000000AE6C: D3F300C0 0F031160
	v_accvgpr_read_b32 v46, a113                               // 00000000AE74: D3D8402E 18000171
	v_cvt_off_f32_i4_e32 v47, v46                              // 00000000AE7C: 7E5E1D2E
	v_cvt_off_f32_i4_sdwa v48, v46 dst_sel:DWORD dst_unused:UNUSED_PRESERVE src0_sel:BYTE_2// 00000000AE80: 7E601CF9 0002162E
	v_cvt_pk_fp8_f32 v50, v47, v48                             // 00000000AE88: D2A20032 0002612F
	v_cvt_off_f32_i4_sdwa v47, v46 dst_sel:DWORD dst_unused:UNUSED_PRESERVE src0_sel:BYTE_1// 00000000AE90: 7E5E1CF9 0001162E
	v_cvt_off_f32_i4_sdwa v48, v46 dst_sel:DWORD dst_unused:UNUSED_PRESERVE src0_sel:BYTE_3// 00000000AE98: 7E601CF9 0003162E
	v_cvt_pk_fp8_f32 v51, v47, v48                             // 00000000AEA0: D2A20033 0002612F
	v_lshrrev_b32_e32 v49, 4, v46                              // 00000000AEA8: 20625C84
	v_cvt_off_f32_i4_e32 v47, v49                              // 00000000AEAC: 7E5E1D31
	v_cvt_off_f32_i4_sdwa v48, v49 dst_sel:DWORD dst_unused:UNUSED_PRESERVE src0_sel:BYTE_2// 00000000AEB0: 7E601CF9 00021631
	v_cvt_pk_fp8_f32 v50, v47, v48 op_sel:[0,0,1]              // 00000000AEB8: D2A24032 0002612F
	v_cvt_off_f32_i4_sdwa v47, v49 dst_sel:DWORD dst_unused:UNUSED_PRESERVE src0_sel:BYTE_1// 00000000AEC0: 7E5E1CF9 00011631
	v_cvt_off_f32_i4_sdwa v48, v49 dst_sel:DWORD dst_unused:UNUSED_PRESERVE src0_sel:BYTE_3// 00000000AEC8: 7E601CF9 00031631
	v_cvt_pk_fp8_f32 v51, v47, v48 op_sel:[0,0,1]              // 00000000AED0: D2A24033 0002612F
	v_accvgpr_write_b32 a98, v50                               // 00000000AED8: D3D94062 18000132
	v_accvgpr_write_b32 a99, v51                               // 00000000AEE0: D3D94063 18000133
	s_nop 3                                                    // 00000000AEE8: BF800003
	v_mfma_f32_16x16x32_fp8_fp8 v[192:195], a[98:99], v[138:139], v[192:195]// 00000000AEEC: D3F300C0 0F031562
	buffer_load_dwordx4 a[48:51], v36, s[12:15], 0 offen       // 00000000AEF4: E05C1000 80833024
	v_accvgpr_read_b32 v46, a114                               // 00000000AEFC: D3D8402E 18000172
	v_cvt_off_f32_i4_e32 v47, v46                              // 00000000AF04: 7E5E1D2E
	v_cvt_off_f32_i4_sdwa v48, v46 dst_sel:DWORD dst_unused:UNUSED_PRESERVE src0_sel:BYTE_2// 00000000AF08: 7E601CF9 0002162E
	v_cvt_pk_fp8_f32 v50, v47, v48                             // 00000000AF10: D2A20032 0002612F
	v_cvt_off_f32_i4_sdwa v47, v46 dst_sel:DWORD dst_unused:UNUSED_PRESERVE src0_sel:BYTE_1// 00000000AF18: 7E5E1CF9 0001162E
	v_cvt_off_f32_i4_sdwa v48, v46 dst_sel:DWORD dst_unused:UNUSED_PRESERVE src0_sel:BYTE_3// 00000000AF20: 7E601CF9 0003162E
	v_cvt_pk_fp8_f32 v51, v47, v48                             // 00000000AF28: D2A20033 0002612F
	v_lshrrev_b32_e32 v49, 4, v46                              // 00000000AF30: 20625C84
	v_cvt_off_f32_i4_e32 v47, v49                              // 00000000AF34: 7E5E1D31
	v_cvt_off_f32_i4_sdwa v48, v49 dst_sel:DWORD dst_unused:UNUSED_PRESERVE src0_sel:BYTE_2// 00000000AF38: 7E601CF9 00021631
	v_cvt_pk_fp8_f32 v50, v47, v48 op_sel:[0,0,1]              // 00000000AF40: D2A24032 0002612F
	v_cvt_off_f32_i4_sdwa v47, v49 dst_sel:DWORD dst_unused:UNUSED_PRESERVE src0_sel:BYTE_1// 00000000AF48: 7E5E1CF9 00011631
	v_cvt_off_f32_i4_sdwa v48, v49 dst_sel:DWORD dst_unused:UNUSED_PRESERVE src0_sel:BYTE_3// 00000000AF50: 7E601CF9 00031631
	v_cvt_pk_fp8_f32 v51, v47, v48 op_sel:[0,0,1]              // 00000000AF58: D2A24033 0002612F
	v_accvgpr_write_b32 a100, v50                              // 00000000AF60: D3D94064 18000132
	v_accvgpr_write_b32 a101, v51                              // 00000000AF68: D3D94065 18000133
	s_nop 3                                                    // 00000000AF70: BF800003
	v_mfma_f32_16x16x32_fp8_fp8 v[192:195], a[100:101], v[140:141], v[192:195]// 00000000AF74: D3F300C0 0F031964
	v_accvgpr_read_b32 v46, a115                               // 00000000AF7C: D3D8402E 18000173
	v_cvt_off_f32_i4_e32 v47, v46                              // 00000000AF84: 7E5E1D2E
	v_cvt_off_f32_i4_sdwa v48, v46 dst_sel:DWORD dst_unused:UNUSED_PRESERVE src0_sel:BYTE_2// 00000000AF88: 7E601CF9 0002162E
	v_cvt_pk_fp8_f32 v50, v47, v48                             // 00000000AF90: D2A20032 0002612F
	v_cvt_off_f32_i4_sdwa v47, v46 dst_sel:DWORD dst_unused:UNUSED_PRESERVE src0_sel:BYTE_1// 00000000AF98: 7E5E1CF9 0001162E
	v_cvt_off_f32_i4_sdwa v48, v46 dst_sel:DWORD dst_unused:UNUSED_PRESERVE src0_sel:BYTE_3// 00000000AFA0: 7E601CF9 0003162E
	v_cvt_pk_fp8_f32 v51, v47, v48                             // 00000000AFA8: D2A20033 0002612F
	v_lshrrev_b32_e32 v49, 4, v46                              // 00000000AFB0: 20625C84
	v_cvt_off_f32_i4_e32 v47, v49                              // 00000000AFB4: 7E5E1D31
	v_cvt_off_f32_i4_sdwa v48, v49 dst_sel:DWORD dst_unused:UNUSED_PRESERVE src0_sel:BYTE_2// 00000000AFB8: 7E601CF9 00021631
	v_cvt_pk_fp8_f32 v50, v47, v48 op_sel:[0,0,1]              // 00000000AFC0: D2A24032 0002612F
	v_cvt_off_f32_i4_sdwa v47, v49 dst_sel:DWORD dst_unused:UNUSED_PRESERVE src0_sel:BYTE_1// 00000000AFC8: 7E5E1CF9 00011631
	v_cvt_off_f32_i4_sdwa v48, v49 dst_sel:DWORD dst_unused:UNUSED_PRESERVE src0_sel:BYTE_3// 00000000AFD0: 7E601CF9 00031631
	v_cvt_pk_fp8_f32 v51, v47, v48 op_sel:[0,0,1]              // 00000000AFD8: D2A24033 0002612F
	v_accvgpr_write_b32 a102, v50                              // 00000000AFE0: D3D94066 18000132
	v_accvgpr_write_b32 a103, v51                              // 00000000AFE8: D3D94067 18000133
	s_nop 3                                                    // 00000000AFF0: BF800003
	v_mfma_f32_16x16x32_fp8_fp8 v[192:195], a[102:103], v[142:143], v[192:195]// 00000000AFF4: D3F300C0 0F031D66
	v_mfma_f32_16x16x32_fp8_fp8 v[196:199], a[96:97], v[152:153], v[196:199]// 00000000AFFC: D3F300C4 0F133160
	v_mfma_f32_16x16x32_fp8_fp8 v[196:199], a[98:99], v[154:155], v[196:199]// 00000000B004: D3F300C4 0F133562
	v_mfma_f32_16x16x32_fp8_fp8 v[196:199], a[100:101], v[156:157], v[196:199]// 00000000B00C: D3F300C4 0F133964
	v_mfma_f32_16x16x32_fp8_fp8 v[196:199], a[102:103], v[158:159], v[196:199]// 00000000B014: D3F300C4 0F133D66
	v_accvgpr_read_b32 v46, a116                               // 00000000B01C: D3D8402E 18000174
	v_cvt_off_f32_i4_e32 v47, v46                              // 00000000B024: 7E5E1D2E
	v_cvt_off_f32_i4_sdwa v48, v46 dst_sel:DWORD dst_unused:UNUSED_PRESERVE src0_sel:BYTE_2// 00000000B028: 7E601CF9 0002162E
	v_cvt_pk_fp8_f32 v50, v47, v48                             // 00000000B030: D2A20032 0002612F
	v_cvt_off_f32_i4_sdwa v47, v46 dst_sel:DWORD dst_unused:UNUSED_PRESERVE src0_sel:BYTE_1// 00000000B038: 7E5E1CF9 0001162E
	v_cvt_off_f32_i4_sdwa v48, v46 dst_sel:DWORD dst_unused:UNUSED_PRESERVE src0_sel:BYTE_3// 00000000B040: 7E601CF9 0003162E
	v_cvt_pk_fp8_f32 v51, v47, v48                             // 00000000B048: D2A20033 0002612F
	v_lshrrev_b32_e32 v49, 4, v46                              // 00000000B050: 20625C84
	v_cvt_off_f32_i4_e32 v47, v49                              // 00000000B054: 7E5E1D31
	v_cvt_off_f32_i4_sdwa v48, v49 dst_sel:DWORD dst_unused:UNUSED_PRESERVE src0_sel:BYTE_2// 00000000B058: 7E601CF9 00021631
	v_cvt_pk_fp8_f32 v50, v47, v48 op_sel:[0,0,1]              // 00000000B060: D2A24032 0002612F
	v_cvt_off_f32_i4_sdwa v47, v49 dst_sel:DWORD dst_unused:UNUSED_PRESERVE src0_sel:BYTE_1// 00000000B068: 7E5E1CF9 00011631
	v_cvt_off_f32_i4_sdwa v48, v49 dst_sel:DWORD dst_unused:UNUSED_PRESERVE src0_sel:BYTE_3// 00000000B070: 7E601CF9 00031631
	v_cvt_pk_fp8_f32 v51, v47, v48 op_sel:[0,0,1]              // 00000000B078: D2A24033 0002612F
	v_accvgpr_write_b32 a104, v50                              // 00000000B080: D3D94068 18000132
	v_accvgpr_write_b32 a105, v51                              // 00000000B088: D3D94069 18000133
	s_nop 3                                                    // 00000000B090: BF800003
	v_mfma_f32_16x16x32_fp8_fp8 v[200:203], a[104:105], v[136:137], v[200:203]// 00000000B094: D3F300C8 0F231168
	v_accvgpr_read_b32 v46, a117                               // 00000000B09C: D3D8402E 18000175
	v_cvt_off_f32_i4_e32 v47, v46                              // 00000000B0A4: 7E5E1D2E
	v_cvt_off_f32_i4_sdwa v48, v46 dst_sel:DWORD dst_unused:UNUSED_PRESERVE src0_sel:BYTE_2// 00000000B0A8: 7E601CF9 0002162E
	v_cvt_pk_fp8_f32 v50, v47, v48                             // 00000000B0B0: D2A20032 0002612F
	v_cvt_off_f32_i4_sdwa v47, v46 dst_sel:DWORD dst_unused:UNUSED_PRESERVE src0_sel:BYTE_1// 00000000B0B8: 7E5E1CF9 0001162E
	v_cvt_off_f32_i4_sdwa v48, v46 dst_sel:DWORD dst_unused:UNUSED_PRESERVE src0_sel:BYTE_3// 00000000B0C0: 7E601CF9 0003162E
	v_cvt_pk_fp8_f32 v51, v47, v48                             // 00000000B0C8: D2A20033 0002612F
	v_lshrrev_b32_e32 v49, 4, v46                              // 00000000B0D0: 20625C84
	v_cvt_off_f32_i4_e32 v47, v49                              // 00000000B0D4: 7E5E1D31
	v_cvt_off_f32_i4_sdwa v48, v49 dst_sel:DWORD dst_unused:UNUSED_PRESERVE src0_sel:BYTE_2// 00000000B0D8: 7E601CF9 00021631
	v_cvt_pk_fp8_f32 v50, v47, v48 op_sel:[0,0,1]              // 00000000B0E0: D2A24032 0002612F
	v_cvt_off_f32_i4_sdwa v47, v49 dst_sel:DWORD dst_unused:UNUSED_PRESERVE src0_sel:BYTE_1// 00000000B0E8: 7E5E1CF9 00011631
	v_cvt_off_f32_i4_sdwa v48, v49 dst_sel:DWORD dst_unused:UNUSED_PRESERVE src0_sel:BYTE_3// 00000000B0F0: 7E601CF9 00031631
	v_cvt_pk_fp8_f32 v51, v47, v48 op_sel:[0,0,1]              // 00000000B0F8: D2A24033 0002612F
	v_accvgpr_write_b32 a106, v50                              // 00000000B100: D3D9406A 18000132
	v_accvgpr_write_b32 a107, v51                              // 00000000B108: D3D9406B 18000133
	s_nop 3                                                    // 00000000B110: BF800003
	v_mfma_f32_16x16x32_fp8_fp8 v[200:203], a[106:107], v[138:139], v[200:203]// 00000000B114: D3F300C8 0F23156A
	buffer_load_dwordx4 a[52:55], v37, s[12:15], 0 offen       // 00000000B11C: E05C1000 80833425
	v_accvgpr_read_b32 v46, a118                               // 00000000B124: D3D8402E 18000176
	v_cvt_off_f32_i4_e32 v47, v46                              // 00000000B12C: 7E5E1D2E
	v_cvt_off_f32_i4_sdwa v48, v46 dst_sel:DWORD dst_unused:UNUSED_PRESERVE src0_sel:BYTE_2// 00000000B130: 7E601CF9 0002162E
	v_cvt_pk_fp8_f32 v50, v47, v48                             // 00000000B138: D2A20032 0002612F
	v_cvt_off_f32_i4_sdwa v47, v46 dst_sel:DWORD dst_unused:UNUSED_PRESERVE src0_sel:BYTE_1// 00000000B140: 7E5E1CF9 0001162E
	v_cvt_off_f32_i4_sdwa v48, v46 dst_sel:DWORD dst_unused:UNUSED_PRESERVE src0_sel:BYTE_3// 00000000B148: 7E601CF9 0003162E
	v_cvt_pk_fp8_f32 v51, v47, v48                             // 00000000B150: D2A20033 0002612F
	v_lshrrev_b32_e32 v49, 4, v46                              // 00000000B158: 20625C84
	v_cvt_off_f32_i4_e32 v47, v49                              // 00000000B15C: 7E5E1D31
	v_cvt_off_f32_i4_sdwa v48, v49 dst_sel:DWORD dst_unused:UNUSED_PRESERVE src0_sel:BYTE_2// 00000000B160: 7E601CF9 00021631
	v_cvt_pk_fp8_f32 v50, v47, v48 op_sel:[0,0,1]              // 00000000B168: D2A24032 0002612F
	v_cvt_off_f32_i4_sdwa v47, v49 dst_sel:DWORD dst_unused:UNUSED_PRESERVE src0_sel:BYTE_1// 00000000B170: 7E5E1CF9 00011631
	v_cvt_off_f32_i4_sdwa v48, v49 dst_sel:DWORD dst_unused:UNUSED_PRESERVE src0_sel:BYTE_3// 00000000B178: 7E601CF9 00031631
	v_cvt_pk_fp8_f32 v51, v47, v48 op_sel:[0,0,1]              // 00000000B180: D2A24033 0002612F
	v_accvgpr_write_b32 a108, v50                              // 00000000B188: D3D9406C 18000132
	v_accvgpr_write_b32 a109, v51                              // 00000000B190: D3D9406D 18000133
	s_nop 3                                                    // 00000000B198: BF800003
	v_mfma_f32_16x16x32_fp8_fp8 v[200:203], a[108:109], v[140:141], v[200:203]// 00000000B19C: D3F300C8 0F23196C
	v_accvgpr_read_b32 v46, a119                               // 00000000B1A4: D3D8402E 18000177
	v_cvt_off_f32_i4_e32 v47, v46                              // 00000000B1AC: 7E5E1D2E
	v_cvt_off_f32_i4_sdwa v48, v46 dst_sel:DWORD dst_unused:UNUSED_PRESERVE src0_sel:BYTE_2// 00000000B1B0: 7E601CF9 0002162E
	v_cvt_pk_fp8_f32 v50, v47, v48                             // 00000000B1B8: D2A20032 0002612F
	v_cvt_off_f32_i4_sdwa v47, v46 dst_sel:DWORD dst_unused:UNUSED_PRESERVE src0_sel:BYTE_1// 00000000B1C0: 7E5E1CF9 0001162E
	v_cvt_off_f32_i4_sdwa v48, v46 dst_sel:DWORD dst_unused:UNUSED_PRESERVE src0_sel:BYTE_3// 00000000B1C8: 7E601CF9 0003162E
	v_cvt_pk_fp8_f32 v51, v47, v48                             // 00000000B1D0: D2A20033 0002612F
	v_lshrrev_b32_e32 v49, 4, v46                              // 00000000B1D8: 20625C84
	v_cvt_off_f32_i4_e32 v47, v49                              // 00000000B1DC: 7E5E1D31
	v_cvt_off_f32_i4_sdwa v48, v49 dst_sel:DWORD dst_unused:UNUSED_PRESERVE src0_sel:BYTE_2// 00000000B1E0: 7E601CF9 00021631
	v_cvt_pk_fp8_f32 v50, v47, v48 op_sel:[0,0,1]              // 00000000B1E8: D2A24032 0002612F
	v_cvt_off_f32_i4_sdwa v47, v49 dst_sel:DWORD dst_unused:UNUSED_PRESERVE src0_sel:BYTE_1// 00000000B1F0: 7E5E1CF9 00011631
	v_cvt_off_f32_i4_sdwa v48, v49 dst_sel:DWORD dst_unused:UNUSED_PRESERVE src0_sel:BYTE_3// 00000000B1F8: 7E601CF9 00031631
	v_cvt_pk_fp8_f32 v51, v47, v48 op_sel:[0,0,1]              // 00000000B200: D2A24033 0002612F
	v_accvgpr_write_b32 a110, v50                              // 00000000B208: D3D9406E 18000132
	v_accvgpr_write_b32 a111, v51                              // 00000000B210: D3D9406F 18000133
	s_nop 3                                                    // 00000000B218: BF800003
	v_mfma_f32_16x16x32_fp8_fp8 v[200:203], a[110:111], v[142:143], v[200:203]// 00000000B21C: D3F300C8 0F231D6E
	v_mfma_f32_16x16x32_fp8_fp8 v[204:207], a[104:105], v[152:153], v[204:207]// 00000000B224: D3F300CC 0F333168
	v_mfma_f32_16x16x32_fp8_fp8 v[204:207], a[106:107], v[154:155], v[204:207]// 00000000B22C: D3F300CC 0F33356A
	v_mfma_f32_16x16x32_fp8_fp8 v[204:207], a[108:109], v[156:157], v[204:207]// 00000000B234: D3F300CC 0F33396C
	v_mfma_f32_16x16x32_fp8_fp8 v[204:207], a[110:111], v[158:159], v[204:207]// 00000000B23C: D3F300CC 0F333D6E
	v_accvgpr_read_b32 v46, a120                               // 00000000B244: D3D8402E 18000178
	v_cvt_off_f32_i4_e32 v47, v46                              // 00000000B24C: 7E5E1D2E
	v_cvt_off_f32_i4_sdwa v48, v46 dst_sel:DWORD dst_unused:UNUSED_PRESERVE src0_sel:BYTE_2// 00000000B250: 7E601CF9 0002162E
	v_cvt_pk_fp8_f32 v50, v47, v48                             // 00000000B258: D2A20032 0002612F
	v_cvt_off_f32_i4_sdwa v47, v46 dst_sel:DWORD dst_unused:UNUSED_PRESERVE src0_sel:BYTE_1// 00000000B260: 7E5E1CF9 0001162E
	v_cvt_off_f32_i4_sdwa v48, v46 dst_sel:DWORD dst_unused:UNUSED_PRESERVE src0_sel:BYTE_3// 00000000B268: 7E601CF9 0003162E
	v_cvt_pk_fp8_f32 v51, v47, v48                             // 00000000B270: D2A20033 0002612F
	v_lshrrev_b32_e32 v49, 4, v46                              // 00000000B278: 20625C84
	v_cvt_off_f32_i4_e32 v47, v49                              // 00000000B27C: 7E5E1D31
	v_cvt_off_f32_i4_sdwa v48, v49 dst_sel:DWORD dst_unused:UNUSED_PRESERVE src0_sel:BYTE_2// 00000000B280: 7E601CF9 00021631
	v_cvt_pk_fp8_f32 v50, v47, v48 op_sel:[0,0,1]              // 00000000B288: D2A24032 0002612F
	v_cvt_off_f32_i4_sdwa v47, v49 dst_sel:DWORD dst_unused:UNUSED_PRESERVE src0_sel:BYTE_1// 00000000B290: 7E5E1CF9 00011631
	v_cvt_off_f32_i4_sdwa v48, v49 dst_sel:DWORD dst_unused:UNUSED_PRESERVE src0_sel:BYTE_3// 00000000B298: 7E601CF9 00031631
	v_cvt_pk_fp8_f32 v51, v47, v48 op_sel:[0,0,1]              // 00000000B2A0: D2A24033 0002612F
	v_accvgpr_write_b32 a112, v50                              // 00000000B2A8: D3D94070 18000132
	v_accvgpr_write_b32 a113, v51                              // 00000000B2B0: D3D94071 18000133
	s_nop 3                                                    // 00000000B2B8: BF800003
	v_mfma_f32_16x16x32_fp8_fp8 v[208:211], a[112:113], v[136:137], v[208:211]// 00000000B2BC: D3F300D0 0F431170
	v_accvgpr_read_b32 v46, a121                               // 00000000B2C4: D3D8402E 18000179
	v_cvt_off_f32_i4_e32 v47, v46                              // 00000000B2CC: 7E5E1D2E
	v_cvt_off_f32_i4_sdwa v48, v46 dst_sel:DWORD dst_unused:UNUSED_PRESERVE src0_sel:BYTE_2// 00000000B2D0: 7E601CF9 0002162E
	v_cvt_pk_fp8_f32 v50, v47, v48                             // 00000000B2D8: D2A20032 0002612F
	v_cvt_off_f32_i4_sdwa v47, v46 dst_sel:DWORD dst_unused:UNUSED_PRESERVE src0_sel:BYTE_1// 00000000B2E0: 7E5E1CF9 0001162E
	v_cvt_off_f32_i4_sdwa v48, v46 dst_sel:DWORD dst_unused:UNUSED_PRESERVE src0_sel:BYTE_3// 00000000B2E8: 7E601CF9 0003162E
	v_cvt_pk_fp8_f32 v51, v47, v48                             // 00000000B2F0: D2A20033 0002612F
	v_lshrrev_b32_e32 v49, 4, v46                              // 00000000B2F8: 20625C84
	v_cvt_off_f32_i4_e32 v47, v49                              // 00000000B2FC: 7E5E1D31
	v_cvt_off_f32_i4_sdwa v48, v49 dst_sel:DWORD dst_unused:UNUSED_PRESERVE src0_sel:BYTE_2// 00000000B300: 7E601CF9 00021631
	v_cvt_pk_fp8_f32 v50, v47, v48 op_sel:[0,0,1]              // 00000000B308: D2A24032 0002612F
	v_cvt_off_f32_i4_sdwa v47, v49 dst_sel:DWORD dst_unused:UNUSED_PRESERVE src0_sel:BYTE_1// 00000000B310: 7E5E1CF9 00011631
	v_cvt_off_f32_i4_sdwa v48, v49 dst_sel:DWORD dst_unused:UNUSED_PRESERVE src0_sel:BYTE_3// 00000000B318: 7E601CF9 00031631
	v_cvt_pk_fp8_f32 v51, v47, v48 op_sel:[0,0,1]              // 00000000B320: D2A24033 0002612F
	v_accvgpr_write_b32 a114, v50                              // 00000000B328: D3D94072 18000132
	v_accvgpr_write_b32 a115, v51                              // 00000000B330: D3D94073 18000133
	s_nop 3                                                    // 00000000B338: BF800003
	v_mfma_f32_16x16x32_fp8_fp8 v[208:211], a[114:115], v[138:139], v[208:211]// 00000000B33C: D3F300D0 0F431572
	buffer_load_dwordx4 a[56:59], v38, s[12:15], 0 offen       // 00000000B344: E05C1000 80833826
	v_accvgpr_read_b32 v46, a122                               // 00000000B34C: D3D8402E 1800017A
	v_cvt_off_f32_i4_e32 v47, v46                              // 00000000B354: 7E5E1D2E
	v_cvt_off_f32_i4_sdwa v48, v46 dst_sel:DWORD dst_unused:UNUSED_PRESERVE src0_sel:BYTE_2// 00000000B358: 7E601CF9 0002162E
	v_cvt_pk_fp8_f32 v50, v47, v48                             // 00000000B360: D2A20032 0002612F
	v_cvt_off_f32_i4_sdwa v47, v46 dst_sel:DWORD dst_unused:UNUSED_PRESERVE src0_sel:BYTE_1// 00000000B368: 7E5E1CF9 0001162E
	v_cvt_off_f32_i4_sdwa v48, v46 dst_sel:DWORD dst_unused:UNUSED_PRESERVE src0_sel:BYTE_3// 00000000B370: 7E601CF9 0003162E
	v_cvt_pk_fp8_f32 v51, v47, v48                             // 00000000B378: D2A20033 0002612F
	v_lshrrev_b32_e32 v49, 4, v46                              // 00000000B380: 20625C84
	v_cvt_off_f32_i4_e32 v47, v49                              // 00000000B384: 7E5E1D31
	v_cvt_off_f32_i4_sdwa v48, v49 dst_sel:DWORD dst_unused:UNUSED_PRESERVE src0_sel:BYTE_2// 00000000B388: 7E601CF9 00021631
	v_cvt_pk_fp8_f32 v50, v47, v48 op_sel:[0,0,1]              // 00000000B390: D2A24032 0002612F
	v_cvt_off_f32_i4_sdwa v47, v49 dst_sel:DWORD dst_unused:UNUSED_PRESERVE src0_sel:BYTE_1// 00000000B398: 7E5E1CF9 00011631
	v_cvt_off_f32_i4_sdwa v48, v49 dst_sel:DWORD dst_unused:UNUSED_PRESERVE src0_sel:BYTE_3// 00000000B3A0: 7E601CF9 00031631
	v_cvt_pk_fp8_f32 v51, v47, v48 op_sel:[0,0,1]              // 00000000B3A8: D2A24033 0002612F
	v_accvgpr_write_b32 a116, v50                              // 00000000B3B0: D3D94074 18000132
	v_accvgpr_write_b32 a117, v51                              // 00000000B3B8: D3D94075 18000133
	s_nop 3                                                    // 00000000B3C0: BF800003
	v_mfma_f32_16x16x32_fp8_fp8 v[208:211], a[116:117], v[140:141], v[208:211]// 00000000B3C4: D3F300D0 0F431974
	v_accvgpr_read_b32 v46, a123                               // 00000000B3CC: D3D8402E 1800017B
	v_cvt_off_f32_i4_e32 v47, v46                              // 00000000B3D4: 7E5E1D2E
	v_cvt_off_f32_i4_sdwa v48, v46 dst_sel:DWORD dst_unused:UNUSED_PRESERVE src0_sel:BYTE_2// 00000000B3D8: 7E601CF9 0002162E
	v_cvt_pk_fp8_f32 v50, v47, v48                             // 00000000B3E0: D2A20032 0002612F
	v_cvt_off_f32_i4_sdwa v47, v46 dst_sel:DWORD dst_unused:UNUSED_PRESERVE src0_sel:BYTE_1// 00000000B3E8: 7E5E1CF9 0001162E
	v_cvt_off_f32_i4_sdwa v48, v46 dst_sel:DWORD dst_unused:UNUSED_PRESERVE src0_sel:BYTE_3// 00000000B3F0: 7E601CF9 0003162E
	v_cvt_pk_fp8_f32 v51, v47, v48                             // 00000000B3F8: D2A20033 0002612F
	v_lshrrev_b32_e32 v49, 4, v46                              // 00000000B400: 20625C84
	v_cvt_off_f32_i4_e32 v47, v49                              // 00000000B404: 7E5E1D31
	v_cvt_off_f32_i4_sdwa v48, v49 dst_sel:DWORD dst_unused:UNUSED_PRESERVE src0_sel:BYTE_2// 00000000B408: 7E601CF9 00021631
	v_cvt_pk_fp8_f32 v50, v47, v48 op_sel:[0,0,1]              // 00000000B410: D2A24032 0002612F
	v_cvt_off_f32_i4_sdwa v47, v49 dst_sel:DWORD dst_unused:UNUSED_PRESERVE src0_sel:BYTE_1// 00000000B418: 7E5E1CF9 00011631
	v_cvt_off_f32_i4_sdwa v48, v49 dst_sel:DWORD dst_unused:UNUSED_PRESERVE src0_sel:BYTE_3// 00000000B420: 7E601CF9 00031631
	v_cvt_pk_fp8_f32 v51, v47, v48 op_sel:[0,0,1]              // 00000000B428: D2A24033 0002612F
	v_accvgpr_write_b32 a118, v50                              // 00000000B430: D3D94076 18000132
	v_accvgpr_write_b32 a119, v51                              // 00000000B438: D3D94077 18000133
	s_nop 3                                                    // 00000000B440: BF800003
	v_mfma_f32_16x16x32_fp8_fp8 v[208:211], a[118:119], v[142:143], v[208:211]// 00000000B444: D3F300D0 0F431D76
	v_mfma_f32_16x16x32_fp8_fp8 v[212:215], a[112:113], v[152:153], v[212:215]// 00000000B44C: D3F300D4 0F533170
	v_mfma_f32_16x16x32_fp8_fp8 v[212:215], a[114:115], v[154:155], v[212:215]// 00000000B454: D3F300D4 0F533572
	v_mfma_f32_16x16x32_fp8_fp8 v[212:215], a[116:117], v[156:157], v[212:215]// 00000000B45C: D3F300D4 0F533974
	v_mfma_f32_16x16x32_fp8_fp8 v[212:215], a[118:119], v[158:159], v[212:215]// 00000000B464: D3F300D4 0F533D76
	v_accvgpr_read_b32 v46, a124                               // 00000000B46C: D3D8402E 1800017C
	v_cvt_off_f32_i4_e32 v47, v46                              // 00000000B474: 7E5E1D2E
	v_cvt_off_f32_i4_sdwa v48, v46 dst_sel:DWORD dst_unused:UNUSED_PRESERVE src0_sel:BYTE_2// 00000000B478: 7E601CF9 0002162E
	v_cvt_pk_fp8_f32 v50, v47, v48                             // 00000000B480: D2A20032 0002612F
	v_cvt_off_f32_i4_sdwa v47, v46 dst_sel:DWORD dst_unused:UNUSED_PRESERVE src0_sel:BYTE_1// 00000000B488: 7E5E1CF9 0001162E
	v_cvt_off_f32_i4_sdwa v48, v46 dst_sel:DWORD dst_unused:UNUSED_PRESERVE src0_sel:BYTE_3// 00000000B490: 7E601CF9 0003162E
	v_cvt_pk_fp8_f32 v51, v47, v48                             // 00000000B498: D2A20033 0002612F
	v_lshrrev_b32_e32 v49, 4, v46                              // 00000000B4A0: 20625C84
	v_cvt_off_f32_i4_e32 v47, v49                              // 00000000B4A4: 7E5E1D31
	v_cvt_off_f32_i4_sdwa v48, v49 dst_sel:DWORD dst_unused:UNUSED_PRESERVE src0_sel:BYTE_2// 00000000B4A8: 7E601CF9 00021631
	v_cvt_pk_fp8_f32 v50, v47, v48 op_sel:[0,0,1]              // 00000000B4B0: D2A24032 0002612F
	v_cvt_off_f32_i4_sdwa v47, v49 dst_sel:DWORD dst_unused:UNUSED_PRESERVE src0_sel:BYTE_1// 00000000B4B8: 7E5E1CF9 00011631
	v_cvt_off_f32_i4_sdwa v48, v49 dst_sel:DWORD dst_unused:UNUSED_PRESERVE src0_sel:BYTE_3// 00000000B4C0: 7E601CF9 00031631
	v_cvt_pk_fp8_f32 v51, v47, v48 op_sel:[0,0,1]              // 00000000B4C8: D2A24033 0002612F
	v_accvgpr_write_b32 a120, v50                              // 00000000B4D0: D3D94078 18000132
	v_accvgpr_write_b32 a121, v51                              // 00000000B4D8: D3D94079 18000133
	s_nop 3                                                    // 00000000B4E0: BF800003
	v_mfma_f32_16x16x32_fp8_fp8 v[216:219], a[120:121], v[136:137], v[216:219]// 00000000B4E4: D3F300D8 0F631178
	v_accvgpr_read_b32 v46, a125                               // 00000000B4EC: D3D8402E 1800017D
	v_cvt_off_f32_i4_e32 v47, v46                              // 00000000B4F4: 7E5E1D2E
	v_cvt_off_f32_i4_sdwa v48, v46 dst_sel:DWORD dst_unused:UNUSED_PRESERVE src0_sel:BYTE_2// 00000000B4F8: 7E601CF9 0002162E
	v_cvt_pk_fp8_f32 v50, v47, v48                             // 00000000B500: D2A20032 0002612F
	v_cvt_off_f32_i4_sdwa v47, v46 dst_sel:DWORD dst_unused:UNUSED_PRESERVE src0_sel:BYTE_1// 00000000B508: 7E5E1CF9 0001162E
	v_cvt_off_f32_i4_sdwa v48, v46 dst_sel:DWORD dst_unused:UNUSED_PRESERVE src0_sel:BYTE_3// 00000000B510: 7E601CF9 0003162E
	v_cvt_pk_fp8_f32 v51, v47, v48                             // 00000000B518: D2A20033 0002612F
	v_lshrrev_b32_e32 v49, 4, v46                              // 00000000B520: 20625C84
	v_cvt_off_f32_i4_e32 v47, v49                              // 00000000B524: 7E5E1D31
	v_cvt_off_f32_i4_sdwa v48, v49 dst_sel:DWORD dst_unused:UNUSED_PRESERVE src0_sel:BYTE_2// 00000000B528: 7E601CF9 00021631
	v_cvt_pk_fp8_f32 v50, v47, v48 op_sel:[0,0,1]              // 00000000B530: D2A24032 0002612F
	v_cvt_off_f32_i4_sdwa v47, v49 dst_sel:DWORD dst_unused:UNUSED_PRESERVE src0_sel:BYTE_1// 00000000B538: 7E5E1CF9 00011631
	v_cvt_off_f32_i4_sdwa v48, v49 dst_sel:DWORD dst_unused:UNUSED_PRESERVE src0_sel:BYTE_3// 00000000B540: 7E601CF9 00031631
	v_cvt_pk_fp8_f32 v51, v47, v48 op_sel:[0,0,1]              // 00000000B548: D2A24033 0002612F
	v_accvgpr_write_b32 a122, v50                              // 00000000B550: D3D9407A 18000132
	v_accvgpr_write_b32 a123, v51                              // 00000000B558: D3D9407B 18000133
	s_nop 3                                                    // 00000000B560: BF800003
	v_mfma_f32_16x16x32_fp8_fp8 v[216:219], a[122:123], v[138:139], v[216:219]// 00000000B564: D3F300D8 0F63157A
	buffer_load_dwordx4 a[60:63], v39, s[12:15], 0 offen       // 00000000B56C: E05C1000 80833C27
	v_accvgpr_read_b32 v46, a126                               // 00000000B574: D3D8402E 1800017E
	v_cvt_off_f32_i4_e32 v47, v46                              // 00000000B57C: 7E5E1D2E
	v_cvt_off_f32_i4_sdwa v48, v46 dst_sel:DWORD dst_unused:UNUSED_PRESERVE src0_sel:BYTE_2// 00000000B580: 7E601CF9 0002162E
	v_cvt_pk_fp8_f32 v50, v47, v48                             // 00000000B588: D2A20032 0002612F
	v_cvt_off_f32_i4_sdwa v47, v46 dst_sel:DWORD dst_unused:UNUSED_PRESERVE src0_sel:BYTE_1// 00000000B590: 7E5E1CF9 0001162E
	v_cvt_off_f32_i4_sdwa v48, v46 dst_sel:DWORD dst_unused:UNUSED_PRESERVE src0_sel:BYTE_3// 00000000B598: 7E601CF9 0003162E
	v_cvt_pk_fp8_f32 v51, v47, v48                             // 00000000B5A0: D2A20033 0002612F
	v_lshrrev_b32_e32 v49, 4, v46                              // 00000000B5A8: 20625C84
	v_cvt_off_f32_i4_e32 v47, v49                              // 00000000B5AC: 7E5E1D31
	v_cvt_off_f32_i4_sdwa v48, v49 dst_sel:DWORD dst_unused:UNUSED_PRESERVE src0_sel:BYTE_2// 00000000B5B0: 7E601CF9 00021631
	v_cvt_pk_fp8_f32 v50, v47, v48 op_sel:[0,0,1]              // 00000000B5B8: D2A24032 0002612F
	v_cvt_off_f32_i4_sdwa v47, v49 dst_sel:DWORD dst_unused:UNUSED_PRESERVE src0_sel:BYTE_1// 00000000B5C0: 7E5E1CF9 00011631
	v_cvt_off_f32_i4_sdwa v48, v49 dst_sel:DWORD dst_unused:UNUSED_PRESERVE src0_sel:BYTE_3// 00000000B5C8: 7E601CF9 00031631
	v_cvt_pk_fp8_f32 v51, v47, v48 op_sel:[0,0,1]              // 00000000B5D0: D2A24033 0002612F
	v_accvgpr_write_b32 a124, v50                              // 00000000B5D8: D3D9407C 18000132
	v_accvgpr_write_b32 a125, v51                              // 00000000B5E0: D3D9407D 18000133
	s_nop 3                                                    // 00000000B5E8: BF800003
	v_mfma_f32_16x16x32_fp8_fp8 v[216:219], a[124:125], v[140:141], v[216:219]// 00000000B5EC: D3F300D8 0F63197C
	v_accvgpr_read_b32 v46, a127                               // 00000000B5F4: D3D8402E 1800017F
	v_cvt_off_f32_i4_e32 v47, v46                              // 00000000B5FC: 7E5E1D2E
	v_cvt_off_f32_i4_sdwa v48, v46 dst_sel:DWORD dst_unused:UNUSED_PRESERVE src0_sel:BYTE_2// 00000000B600: 7E601CF9 0002162E
	v_cvt_pk_fp8_f32 v50, v47, v48                             // 00000000B608: D2A20032 0002612F
	v_cvt_off_f32_i4_sdwa v47, v46 dst_sel:DWORD dst_unused:UNUSED_PRESERVE src0_sel:BYTE_1// 00000000B610: 7E5E1CF9 0001162E
	v_cvt_off_f32_i4_sdwa v48, v46 dst_sel:DWORD dst_unused:UNUSED_PRESERVE src0_sel:BYTE_3// 00000000B618: 7E601CF9 0003162E
	v_cvt_pk_fp8_f32 v51, v47, v48                             // 00000000B620: D2A20033 0002612F
	v_lshrrev_b32_e32 v49, 4, v46                              // 00000000B628: 20625C84
	v_cvt_off_f32_i4_e32 v47, v49                              // 00000000B62C: 7E5E1D31
	v_cvt_off_f32_i4_sdwa v48, v49 dst_sel:DWORD dst_unused:UNUSED_PRESERVE src0_sel:BYTE_2// 00000000B630: 7E601CF9 00021631
	v_cvt_pk_fp8_f32 v50, v47, v48 op_sel:[0,0,1]              // 00000000B638: D2A24032 0002612F
	v_cvt_off_f32_i4_sdwa v47, v49 dst_sel:DWORD dst_unused:UNUSED_PRESERVE src0_sel:BYTE_1// 00000000B640: 7E5E1CF9 00011631
	v_cvt_off_f32_i4_sdwa v48, v49 dst_sel:DWORD dst_unused:UNUSED_PRESERVE src0_sel:BYTE_3// 00000000B648: 7E601CF9 00031631
	v_cvt_pk_fp8_f32 v51, v47, v48 op_sel:[0,0,1]              // 00000000B650: D2A24033 0002612F
	v_accvgpr_write_b32 a126, v50                              // 00000000B658: D3D9407E 18000132
	v_accvgpr_write_b32 a127, v51                              // 00000000B660: D3D9407F 18000133
	s_nop 3                                                    // 00000000B668: BF800003
	v_mfma_f32_16x16x32_fp8_fp8 v[216:219], a[126:127], v[142:143], v[216:219]// 00000000B66C: D3F300D8 0F631D7E
	v_mfma_f32_16x16x32_fp8_fp8 v[220:223], a[120:121], v[152:153], v[220:223]// 00000000B674: D3F300DC 0F733178
	v_mfma_f32_16x16x32_fp8_fp8 v[220:223], a[122:123], v[154:155], v[220:223]// 00000000B67C: D3F300DC 0F73357A
	v_mfma_f32_16x16x32_fp8_fp8 v[220:223], a[124:125], v[156:157], v[220:223]// 00000000B684: D3F300DC 0F73397C
	v_mfma_f32_16x16x32_fp8_fp8 v[220:223], a[126:127], v[158:159], v[220:223]// 00000000B68C: D3F300DC 0F733D7E
	s_add_u32 s60, 0x200, s80                                  // 00000000B694: 803C50FF 00000200
	s_cmp_lt_u32 s60, s81                                      // 00000000B69C: BF0A513C
	s_cselect_b32 s56, s56, 0                                  // 00000000B6A0: 85388038
	s_cselect_b32 s78, s78, 0                                  // 00000000B6A4: 854E804E
	s_cselect_b32 s79, s79, 0                                  // 00000000B6A8: 854F804F
	s_add_u32 s12, s56, s12                                    // 00000000B6AC: 800C0C38
	s_addc_u32 s13, 0, s13                                     // 00000000B6B0: 820D0D80
	s_add_u32 s16, s79, s16                                    // 00000000B6B4: 8010104F
	s_addc_u32 s17, 0, s17                                     // 00000000B6B8: 82111180
	v_mul_f32_e32 v192, v22, v192                              // 00000000B6BC: 0B818116
	v_mul_f32_e32 v192, 0x41800000, v192                       // 00000000B6C0: 0B8180FF 41800000
	v_mul_f32_e32 v193, v22, v193                              // 00000000B6C8: 0B838316
	v_mul_f32_e32 v193, 0x41800000, v193                       // 00000000B6CC: 0B8382FF 41800000
	v_mul_f32_e32 v194, v22, v194                              // 00000000B6D4: 0B858516
	v_mul_f32_e32 v194, 0x41800000, v194                       // 00000000B6D8: 0B8584FF 41800000
	v_mul_f32_e32 v195, v22, v195                              // 00000000B6E0: 0B878716
	v_mul_f32_e32 v195, 0x41800000, v195                       // 00000000B6E4: 0B8786FF 41800000
	v_mul_f32_dpp v192, v12, v192 row_newbcast:0 row_mask:0xf bank_mask:0xf// 00000000B6EC: 0B8180FA FF01500C
	v_mul_f32_dpp v193, v12, v193 row_newbcast:1 row_mask:0xf bank_mask:0xf// 00000000B6F4: 0B8382FA FF01510C
	v_mul_f32_dpp v194, v12, v194 row_newbcast:2 row_mask:0xf bank_mask:0xf// 00000000B6FC: 0B8584FA FF01520C
	v_mul_f32_dpp v195, v12, v195 row_newbcast:3 row_mask:0xf bank_mask:0xf// 00000000B704: 0B8786FA FF01530C
	v_mul_f32_e32 v192, v17, v192                              // 00000000B70C: 0B818111
	v_mul_f32_e32 v193, v17, v193                              // 00000000B710: 0B838311
	v_mul_f32_e32 v194, v17, v194                              // 00000000B714: 0B858511
	v_mul_f32_e32 v195, v17, v195                              // 00000000B718: 0B878711
	v_mul_f32_e32 v196, v23, v196                              // 00000000B71C: 0B898917
	v_mul_f32_e32 v196, 0x41800000, v196                       // 00000000B720: 0B8988FF 41800000
	v_mul_f32_e32 v197, v23, v197                              // 00000000B728: 0B8B8B17
	v_mul_f32_e32 v197, 0x41800000, v197                       // 00000000B72C: 0B8B8AFF 41800000
	v_mul_f32_e32 v198, v23, v198                              // 00000000B734: 0B8D8D17
	v_mul_f32_e32 v198, 0x41800000, v198                       // 00000000B738: 0B8D8CFF 41800000
	v_mul_f32_e32 v199, v23, v199                              // 00000000B740: 0B8F8F17
	v_mul_f32_e32 v199, 0x41800000, v199                       // 00000000B744: 0B8F8EFF 41800000
	v_mul_f32_dpp v196, v12, v196 row_newbcast:0 row_mask:0xf bank_mask:0xf// 00000000B74C: 0B8988FA FF01500C
	v_mul_f32_dpp v197, v12, v197 row_newbcast:1 row_mask:0xf bank_mask:0xf// 00000000B754: 0B8B8AFA FF01510C
	v_mul_f32_dpp v198, v12, v198 row_newbcast:2 row_mask:0xf bank_mask:0xf// 00000000B75C: 0B8D8CFA FF01520C
	v_mul_f32_dpp v199, v12, v199 row_newbcast:3 row_mask:0xf bank_mask:0xf// 00000000B764: 0B8F8EFA FF01530C
	v_mul_f32_e32 v196, v18, v196                              // 00000000B76C: 0B898912
	v_mul_f32_e32 v197, v18, v197                              // 00000000B770: 0B8B8B12
	v_mul_f32_e32 v198, v18, v198                              // 00000000B774: 0B8D8D12
	v_mul_f32_e32 v199, v18, v199                              // 00000000B778: 0B8F8F12
	v_mul_f32_e32 v200, v22, v200                              // 00000000B77C: 0B919116
	v_mul_f32_e32 v200, 0x41800000, v200                       // 00000000B780: 0B9190FF 41800000
	v_mul_f32_e32 v201, v22, v201                              // 00000000B788: 0B939316
	v_mul_f32_e32 v201, 0x41800000, v201                       // 00000000B78C: 0B9392FF 41800000
	v_mul_f32_e32 v202, v22, v202                              // 00000000B794: 0B959516
	v_mul_f32_e32 v202, 0x41800000, v202                       // 00000000B798: 0B9594FF 41800000
	v_mul_f32_e32 v203, v22, v203                              // 00000000B7A0: 0B979716
	v_mul_f32_e32 v203, 0x41800000, v203                       // 00000000B7A4: 0B9796FF 41800000
	v_mul_f32_dpp v200, v12, v200 row_newbcast:4 row_mask:0xf bank_mask:0xf// 00000000B7AC: 0B9190FA FF01540C
	v_mul_f32_dpp v201, v12, v201 row_newbcast:5 row_mask:0xf bank_mask:0xf// 00000000B7B4: 0B9392FA FF01550C
	v_mul_f32_dpp v202, v12, v202 row_newbcast:6 row_mask:0xf bank_mask:0xf// 00000000B7BC: 0B9594FA FF01560C
	v_mul_f32_dpp v203, v12, v203 row_newbcast:7 row_mask:0xf bank_mask:0xf// 00000000B7C4: 0B9796FA FF01570C
	v_mul_f32_e32 v200, v17, v200                              // 00000000B7CC: 0B919111
	v_mul_f32_e32 v201, v17, v201                              // 00000000B7D0: 0B939311
	v_mul_f32_e32 v202, v17, v202                              // 00000000B7D4: 0B959511
	v_mul_f32_e32 v203, v17, v203                              // 00000000B7D8: 0B979711
	v_mul_f32_e32 v204, v23, v204                              // 00000000B7DC: 0B999917
	v_mul_f32_e32 v204, 0x41800000, v204                       // 00000000B7E0: 0B9998FF 41800000
	v_mul_f32_e32 v205, v23, v205                              // 00000000B7E8: 0B9B9B17
	v_mul_f32_e32 v205, 0x41800000, v205                       // 00000000B7EC: 0B9B9AFF 41800000
	v_mul_f32_e32 v206, v23, v206                              // 00000000B7F4: 0B9D9D17
	v_mul_f32_e32 v206, 0x41800000, v206                       // 00000000B7F8: 0B9D9CFF 41800000
	v_mul_f32_e32 v207, v23, v207                              // 00000000B800: 0B9F9F17
	v_mul_f32_e32 v207, 0x41800000, v207                       // 00000000B804: 0B9F9EFF 41800000
	v_mul_f32_dpp v204, v12, v204 row_newbcast:4 row_mask:0xf bank_mask:0xf// 00000000B80C: 0B9998FA FF01540C
	v_mul_f32_dpp v205, v12, v205 row_newbcast:5 row_mask:0xf bank_mask:0xf// 00000000B814: 0B9B9AFA FF01550C
	v_mul_f32_dpp v206, v12, v206 row_newbcast:6 row_mask:0xf bank_mask:0xf// 00000000B81C: 0B9D9CFA FF01560C
	v_mul_f32_dpp v207, v12, v207 row_newbcast:7 row_mask:0xf bank_mask:0xf// 00000000B824: 0B9F9EFA FF01570C
	v_mul_f32_e32 v204, v18, v204                              // 00000000B82C: 0B999912
	v_mul_f32_e32 v205, v18, v205                              // 00000000B830: 0B9B9B12
	v_mul_f32_e32 v206, v18, v206                              // 00000000B834: 0B9D9D12
	v_mul_f32_e32 v207, v18, v207                              // 00000000B838: 0B9F9F12
	v_mul_f32_e32 v208, v22, v208                              // 00000000B83C: 0BA1A116
	v_mul_f32_e32 v208, 0x41800000, v208                       // 00000000B840: 0BA1A0FF 41800000
	v_mul_f32_e32 v209, v22, v209                              // 00000000B848: 0BA3A316
	v_mul_f32_e32 v209, 0x41800000, v209                       // 00000000B84C: 0BA3A2FF 41800000
	v_mul_f32_e32 v210, v22, v210                              // 00000000B854: 0BA5A516
	v_mul_f32_e32 v210, 0x41800000, v210                       // 00000000B858: 0BA5A4FF 41800000
	v_mul_f32_e32 v211, v22, v211                              // 00000000B860: 0BA7A716
	v_mul_f32_e32 v211, 0x41800000, v211                       // 00000000B864: 0BA7A6FF 41800000
	v_mul_f32_dpp v208, v12, v208 row_newbcast:8 row_mask:0xf bank_mask:0xf// 00000000B86C: 0BA1A0FA FF01580C
	v_mul_f32_dpp v209, v12, v209 row_newbcast:9 row_mask:0xf bank_mask:0xf// 00000000B874: 0BA3A2FA FF01590C
	v_mul_f32_dpp v210, v12, v210 row_newbcast:10 row_mask:0xf bank_mask:0xf// 00000000B87C: 0BA5A4FA FF015A0C
	v_mul_f32_dpp v211, v12, v211 row_newbcast:11 row_mask:0xf bank_mask:0xf// 00000000B884: 0BA7A6FA FF015B0C
	v_mul_f32_e32 v208, v17, v208                              // 00000000B88C: 0BA1A111
	v_mul_f32_e32 v209, v17, v209                              // 00000000B890: 0BA3A311
	v_mul_f32_e32 v210, v17, v210                              // 00000000B894: 0BA5A511
	v_mul_f32_e32 v211, v17, v211                              // 00000000B898: 0BA7A711
	v_mul_f32_e32 v212, v23, v212                              // 00000000B89C: 0BA9A917
	v_mul_f32_e32 v212, 0x41800000, v212                       // 00000000B8A0: 0BA9A8FF 41800000
	v_mul_f32_e32 v213, v23, v213                              // 00000000B8A8: 0BABAB17
	v_mul_f32_e32 v213, 0x41800000, v213                       // 00000000B8AC: 0BABAAFF 41800000
	v_mul_f32_e32 v214, v23, v214                              // 00000000B8B4: 0BADAD17
	v_mul_f32_e32 v214, 0x41800000, v214                       // 00000000B8B8: 0BADACFF 41800000
	v_mul_f32_e32 v215, v23, v215                              // 00000000B8C0: 0BAFAF17
	v_mul_f32_e32 v215, 0x41800000, v215                       // 00000000B8C4: 0BAFAEFF 41800000
	v_mul_f32_dpp v212, v12, v212 row_newbcast:8 row_mask:0xf bank_mask:0xf// 00000000B8CC: 0BA9A8FA FF01580C
	v_mul_f32_dpp v213, v12, v213 row_newbcast:9 row_mask:0xf bank_mask:0xf// 00000000B8D4: 0BABAAFA FF01590C
	v_mul_f32_dpp v214, v12, v214 row_newbcast:10 row_mask:0xf bank_mask:0xf// 00000000B8DC: 0BADACFA FF015A0C
	v_mul_f32_dpp v215, v12, v215 row_newbcast:11 row_mask:0xf bank_mask:0xf// 00000000B8E4: 0BAFAEFA FF015B0C
	v_mul_f32_e32 v212, v18, v212                              // 00000000B8EC: 0BA9A912
	v_mul_f32_e32 v213, v18, v213                              // 00000000B8F0: 0BABAB12
	v_mul_f32_e32 v214, v18, v214                              // 00000000B8F4: 0BADAD12
	v_mul_f32_e32 v215, v18, v215                              // 00000000B8F8: 0BAFAF12
	v_mul_f32_e32 v216, v22, v216                              // 00000000B8FC: 0BB1B116
	v_mul_f32_e32 v216, 0x41800000, v216                       // 00000000B900: 0BB1B0FF 41800000
	v_mul_f32_e32 v217, v22, v217                              // 00000000B908: 0BB3B316
	v_mul_f32_e32 v217, 0x41800000, v217                       // 00000000B90C: 0BB3B2FF 41800000
	v_mul_f32_e32 v218, v22, v218                              // 00000000B914: 0BB5B516
	v_mul_f32_e32 v218, 0x41800000, v218                       // 00000000B918: 0BB5B4FF 41800000
	v_mul_f32_e32 v219, v22, v219                              // 00000000B920: 0BB7B716
	v_mul_f32_e32 v219, 0x41800000, v219                       // 00000000B924: 0BB7B6FF 41800000
	v_mul_f32_dpp v216, v12, v216 row_newbcast:12 row_mask:0xf bank_mask:0xf// 00000000B92C: 0BB1B0FA FF015C0C
	v_mul_f32_dpp v217, v12, v217 row_newbcast:13 row_mask:0xf bank_mask:0xf// 00000000B934: 0BB3B2FA FF015D0C
	v_mul_f32_dpp v218, v12, v218 row_newbcast:14 row_mask:0xf bank_mask:0xf// 00000000B93C: 0BB5B4FA FF015E0C
	v_mul_f32_dpp v219, v12, v219 row_newbcast:15 row_mask:0xf bank_mask:0xf// 00000000B944: 0BB7B6FA FF015F0C
	v_mul_f32_e32 v216, v17, v216                              // 00000000B94C: 0BB1B111
	v_mul_f32_e32 v217, v17, v217                              // 00000000B950: 0BB3B311
	v_mul_f32_e32 v218, v17, v218                              // 00000000B954: 0BB5B511
	v_mul_f32_e32 v219, v17, v219                              // 00000000B958: 0BB7B711
	v_mul_f32_e32 v220, v23, v220                              // 00000000B95C: 0BB9B917
	v_mul_f32_e32 v220, 0x41800000, v220                       // 00000000B960: 0BB9B8FF 41800000
	v_mul_f32_e32 v221, v23, v221                              // 00000000B968: 0BBBBB17
	v_mul_f32_e32 v221, 0x41800000, v221                       // 00000000B96C: 0BBBBAFF 41800000
	v_mul_f32_e32 v222, v23, v222                              // 00000000B974: 0BBDBD17
	v_mul_f32_e32 v222, 0x41800000, v222                       // 00000000B978: 0BBDBCFF 41800000
	v_mul_f32_e32 v223, v23, v223                              // 00000000B980: 0BBFBF17
	v_mul_f32_e32 v223, 0x41800000, v223                       // 00000000B984: 0BBFBEFF 41800000
	v_mul_f32_dpp v220, v12, v220 row_newbcast:12 row_mask:0xf bank_mask:0xf// 00000000B98C: 0BB9B8FA FF015C0C
	v_mul_f32_dpp v221, v12, v221 row_newbcast:13 row_mask:0xf bank_mask:0xf// 00000000B994: 0BBBBAFA FF015D0C
	v_mul_f32_dpp v222, v12, v222 row_newbcast:14 row_mask:0xf bank_mask:0xf// 00000000B99C: 0BBDBCFA FF015E0C
	v_mul_f32_dpp v223, v12, v223 row_newbcast:15 row_mask:0xf bank_mask:0xf// 00000000B9A4: 0BBFBEFA FF015F0C
	v_mul_f32_e32 v220, v18, v220                              // 00000000B9AC: 0BB9B912
	v_mul_f32_e32 v221, v18, v221                              // 00000000B9B0: 0BBBBB12
	v_mul_f32_e32 v222, v18, v222                              // 00000000B9B4: 0BBDBD12
	v_mul_f32_e32 v223, v18, v223                              // 00000000B9B8: 0BBFBF12
	v_cmp_u_f32_e64 s[48:49], v192, v192                       // 00000000B9BC: D0480030 000381C0
	v_add3_u32 v40, v192, v43, 1                               // 00000000B9C4: D1FF0028 020657C0
	v_cndmask_b32_e64 v46, v40, v42, s[48:49]                  // 00000000B9CC: D100002E 00C25528
	v_cmp_u_f32_e64 s[48:49], v193, v193                       // 00000000B9D4: D0480030 000383C1
	v_add3_u32 v40, v193, v43, 1                               // 00000000B9DC: D1FF0028 020657C1
	v_cndmask_b32_e64 v47, v40, v42, s[48:49]                  // 00000000B9E4: D100002F 00C25528
	v_perm_b32 v192, v47, v46, s52                             // 00000000B9EC: D1ED00C0 00D25D2F
	v_cmp_u_f32_e64 s[48:49], v194, v194                       // 00000000B9F4: D0480030 000385C2
	v_add3_u32 v40, v194, v43, 1                               // 00000000B9FC: D1FF0028 020657C2
	v_cndmask_b32_e64 v46, v40, v42, s[48:49]                  // 00000000BA04: D100002E 00C25528
	v_cmp_u_f32_e64 s[48:49], v195, v195                       // 00000000BA0C: D0480030 000387C3
	v_add3_u32 v40, v195, v43, 1                               // 00000000BA14: D1FF0028 020657C3
	v_cndmask_b32_e64 v47, v40, v42, s[48:49]                  // 00000000BA1C: D100002F 00C25528
	v_perm_b32 v193, v47, v46, s52                             // 00000000BA24: D1ED00C1 00D25D2F
	v_cmp_u_f32_e64 s[48:49], v196, v196                       // 00000000BA2C: D0480030 000389C4
	v_add3_u32 v40, v196, v43, 1                               // 00000000BA34: D1FF0028 020657C4
	v_cndmask_b32_e64 v46, v40, v42, s[48:49]                  // 00000000BA3C: D100002E 00C25528
	v_cmp_u_f32_e64 s[48:49], v197, v197                       // 00000000BA44: D0480030 00038BC5
	v_add3_u32 v40, v197, v43, 1                               // 00000000BA4C: D1FF0028 020657C5
	v_cndmask_b32_e64 v47, v40, v42, s[48:49]                  // 00000000BA54: D100002F 00C25528
	v_perm_b32 v194, v47, v46, s52                             // 00000000BA5C: D1ED00C2 00D25D2F
	v_cmp_u_f32_e64 s[48:49], v198, v198                       // 00000000BA64: D0480030 00038DC6
	v_add3_u32 v40, v198, v43, 1                               // 00000000BA6C: D1FF0028 020657C6
	v_cndmask_b32_e64 v46, v40, v42, s[48:49]                  // 00000000BA74: D100002E 00C25528
	v_cmp_u_f32_e64 s[48:49], v199, v199                       // 00000000BA7C: D0480030 00038FC7
	v_add3_u32 v40, v199, v43, 1                               // 00000000BA84: D1FF0028 020657C7
	v_cndmask_b32_e64 v47, v40, v42, s[48:49]                  // 00000000BA8C: D100002F 00C25528
	v_perm_b32 v195, v47, v46, s52                             // 00000000BA94: D1ED00C3 00D25D2F
	v_cmp_u_f32_e64 s[48:49], v200, v200                       // 00000000BA9C: D0480030 000391C8
	v_add3_u32 v40, v200, v43, 1                               // 00000000BAA4: D1FF0028 020657C8
	v_cndmask_b32_e64 v46, v40, v42, s[48:49]                  // 00000000BAAC: D100002E 00C25528
	v_cmp_u_f32_e64 s[48:49], v201, v201                       // 00000000BAB4: D0480030 000393C9
	v_add3_u32 v40, v201, v43, 1                               // 00000000BABC: D1FF0028 020657C9
	v_cndmask_b32_e64 v47, v40, v42, s[48:49]                  // 00000000BAC4: D100002F 00C25528
	v_perm_b32 v196, v47, v46, s52                             // 00000000BACC: D1ED00C4 00D25D2F
	v_cmp_u_f32_e64 s[48:49], v202, v202                       // 00000000BAD4: D0480030 000395CA
	v_add3_u32 v40, v202, v43, 1                               // 00000000BADC: D1FF0028 020657CA
	v_cndmask_b32_e64 v46, v40, v42, s[48:49]                  // 00000000BAE4: D100002E 00C25528
	v_cmp_u_f32_e64 s[48:49], v203, v203                       // 00000000BAEC: D0480030 000397CB
	v_add3_u32 v40, v203, v43, 1                               // 00000000BAF4: D1FF0028 020657CB
	v_cndmask_b32_e64 v47, v40, v42, s[48:49]                  // 00000000BAFC: D100002F 00C25528
	v_perm_b32 v197, v47, v46, s52                             // 00000000BB04: D1ED00C5 00D25D2F
	v_cmp_u_f32_e64 s[48:49], v204, v204                       // 00000000BB0C: D0480030 000399CC
	v_add3_u32 v40, v204, v43, 1                               // 00000000BB14: D1FF0028 020657CC
	v_cndmask_b32_e64 v46, v40, v42, s[48:49]                  // 00000000BB1C: D100002E 00C25528
	v_cmp_u_f32_e64 s[48:49], v205, v205                       // 00000000BB24: D0480030 00039BCD
	v_add3_u32 v40, v205, v43, 1                               // 00000000BB2C: D1FF0028 020657CD
	v_cndmask_b32_e64 v47, v40, v42, s[48:49]                  // 00000000BB34: D100002F 00C25528
	v_perm_b32 v198, v47, v46, s52                             // 00000000BB3C: D1ED00C6 00D25D2F
	v_cmp_u_f32_e64 s[48:49], v206, v206                       // 00000000BB44: D0480030 00039DCE
	v_add3_u32 v40, v206, v43, 1                               // 00000000BB4C: D1FF0028 020657CE
	v_cndmask_b32_e64 v46, v40, v42, s[48:49]                  // 00000000BB54: D100002E 00C25528
	v_cmp_u_f32_e64 s[48:49], v207, v207                       // 00000000BB5C: D0480030 00039FCF
	v_add3_u32 v40, v207, v43, 1                               // 00000000BB64: D1FF0028 020657CF
	v_cndmask_b32_e64 v47, v40, v42, s[48:49]                  // 00000000BB6C: D100002F 00C25528
	v_perm_b32 v199, v47, v46, s52                             // 00000000BB74: D1ED00C7 00D25D2F
	v_cmp_u_f32_e64 s[48:49], v208, v208                       // 00000000BB7C: D0480030 0003A1D0
	v_add3_u32 v40, v208, v43, 1                               // 00000000BB84: D1FF0028 020657D0
	v_cndmask_b32_e64 v46, v40, v42, s[48:49]                  // 00000000BB8C: D100002E 00C25528
	v_cmp_u_f32_e64 s[48:49], v209, v209                       // 00000000BB94: D0480030 0003A3D1
	v_add3_u32 v40, v209, v43, 1                               // 00000000BB9C: D1FF0028 020657D1
	v_cndmask_b32_e64 v47, v40, v42, s[48:49]                  // 00000000BBA4: D100002F 00C25528
	v_perm_b32 v200, v47, v46, s52                             // 00000000BBAC: D1ED00C8 00D25D2F
	v_cmp_u_f32_e64 s[48:49], v210, v210                       // 00000000BBB4: D0480030 0003A5D2
	v_add3_u32 v40, v210, v43, 1                               // 00000000BBBC: D1FF0028 020657D2
	v_cndmask_b32_e64 v46, v40, v42, s[48:49]                  // 00000000BBC4: D100002E 00C25528
	v_cmp_u_f32_e64 s[48:49], v211, v211                       // 00000000BBCC: D0480030 0003A7D3
	v_add3_u32 v40, v211, v43, 1                               // 00000000BBD4: D1FF0028 020657D3
	v_cndmask_b32_e64 v47, v40, v42, s[48:49]                  // 00000000BBDC: D100002F 00C25528
	v_perm_b32 v201, v47, v46, s52                             // 00000000BBE4: D1ED00C9 00D25D2F
	v_cmp_u_f32_e64 s[48:49], v212, v212                       // 00000000BBEC: D0480030 0003A9D4
	v_add3_u32 v40, v212, v43, 1                               // 00000000BBF4: D1FF0028 020657D4
	v_cndmask_b32_e64 v46, v40, v42, s[48:49]                  // 00000000BBFC: D100002E 00C25528
	v_cmp_u_f32_e64 s[48:49], v213, v213                       // 00000000BC04: D0480030 0003ABD5
	v_add3_u32 v40, v213, v43, 1                               // 00000000BC0C: D1FF0028 020657D5
	v_cndmask_b32_e64 v47, v40, v42, s[48:49]                  // 00000000BC14: D100002F 00C25528
	v_perm_b32 v202, v47, v46, s52                             // 00000000BC1C: D1ED00CA 00D25D2F
	v_cmp_u_f32_e64 s[48:49], v214, v214                       // 00000000BC24: D0480030 0003ADD6
	v_add3_u32 v40, v214, v43, 1                               // 00000000BC2C: D1FF0028 020657D6
	v_cndmask_b32_e64 v46, v40, v42, s[48:49]                  // 00000000BC34: D100002E 00C25528
	v_cmp_u_f32_e64 s[48:49], v215, v215                       // 00000000BC3C: D0480030 0003AFD7
	v_add3_u32 v40, v215, v43, 1                               // 00000000BC44: D1FF0028 020657D7
	v_cndmask_b32_e64 v47, v40, v42, s[48:49]                  // 00000000BC4C: D100002F 00C25528
	v_perm_b32 v203, v47, v46, s52                             // 00000000BC54: D1ED00CB 00D25D2F
	v_cmp_u_f32_e64 s[48:49], v216, v216                       // 00000000BC5C: D0480030 0003B1D8
	v_add3_u32 v40, v216, v43, 1                               // 00000000BC64: D1FF0028 020657D8
	v_cndmask_b32_e64 v46, v40, v42, s[48:49]                  // 00000000BC6C: D100002E 00C25528
	v_cmp_u_f32_e64 s[48:49], v217, v217                       // 00000000BC74: D0480030 0003B3D9
	v_add3_u32 v40, v217, v43, 1                               // 00000000BC7C: D1FF0028 020657D9
	v_cndmask_b32_e64 v47, v40, v42, s[48:49]                  // 00000000BC84: D100002F 00C25528
	v_perm_b32 v204, v47, v46, s52                             // 00000000BC8C: D1ED00CC 00D25D2F
	v_cmp_u_f32_e64 s[48:49], v218, v218                       // 00000000BC94: D0480030 0003B5DA
	v_add3_u32 v40, v218, v43, 1                               // 00000000BC9C: D1FF0028 020657DA
	v_cndmask_b32_e64 v46, v40, v42, s[48:49]                  // 00000000BCA4: D100002E 00C25528
	v_cmp_u_f32_e64 s[48:49], v219, v219                       // 00000000BCAC: D0480030 0003B7DB
	v_add3_u32 v40, v219, v43, 1                               // 00000000BCB4: D1FF0028 020657DB
	v_cndmask_b32_e64 v47, v40, v42, s[48:49]                  // 00000000BCBC: D100002F 00C25528
	v_perm_b32 v205, v47, v46, s52                             // 00000000BCC4: D1ED00CD 00D25D2F
	v_cmp_u_f32_e64 s[48:49], v220, v220                       // 00000000BCCC: D0480030 0003B9DC
	v_add3_u32 v40, v220, v43, 1                               // 00000000BCD4: D1FF0028 020657DC
	v_cndmask_b32_e64 v46, v40, v42, s[48:49]                  // 00000000BCDC: D100002E 00C25528
	v_cmp_u_f32_e64 s[48:49], v221, v221                       // 00000000BCE4: D0480030 0003BBDD
	v_add3_u32 v40, v221, v43, 1                               // 00000000BCEC: D1FF0028 020657DD
	v_cndmask_b32_e64 v47, v40, v42, s[48:49]                  // 00000000BCF4: D100002F 00C25528
	v_perm_b32 v206, v47, v46, s52                             // 00000000BCFC: D1ED00CE 00D25D2F
	v_cmp_u_f32_e64 s[48:49], v222, v222                       // 00000000BD04: D0480030 0003BDDE
	v_add3_u32 v40, v222, v43, 1                               // 00000000BD0C: D1FF0028 020657DE
	v_cndmask_b32_e64 v46, v40, v42, s[48:49]                  // 00000000BD14: D100002E 00C25528
	v_cmp_u_f32_e64 s[48:49], v223, v223                       // 00000000BD1C: D0480030 0003BFDF
	v_add3_u32 v40, v223, v43, 1                               // 00000000BD24: D1FF0028 020657DF
	v_cndmask_b32_e64 v47, v40, v42, s[48:49]                  // 00000000BD2C: D100002F 00C25528
	v_perm_b32 v207, v47, v46, s52                             // 00000000BD34: D1ED00CF 00D25D2F
	ds_write_b64 v3, v[192:193] offset:26880                   // 00000000BD3C: D89A6900 0000C003
	ds_write_b64 v3, v[194:195] offset:35584                   // 00000000BD44: D89A8B00 0000C203
	ds_write_b64 v3, v[196:197] offset:29056                   // 00000000BD4C: D89A7180 0000C403
	ds_write_b64 v3, v[198:199] offset:37760                   // 00000000BD54: D89A9380 0000C603
	ds_write_b64 v3, v[200:201] offset:31232                   // 00000000BD5C: D89A7A00 0000C803
	ds_write_b64 v3, v[202:203] offset:39936                   // 00000000BD64: D89A9C00 0000CA03
	ds_write_b64 v3, v[204:205] offset:33408                   // 00000000BD6C: D89A8280 0000CC03
	ds_write_b64 v3, v[206:207] offset:42112                   // 00000000BD74: D89AA480 0000CE03
	s_waitcnt lgkmcnt(0)                                       // 00000000BD7C: BF8CC07F
	s_barrier                                                  // 00000000BD80: BF8A0000
	ds_read_b32 v64, v4 offset:26880                           // 00000000BD84: D86C6900 40000004
	ds_read_b32 v65, v4 offset:31232                           // 00000000BD8C: D86C7A00 41000004
	ds_read_b32 v66, v4 offset:26912                           // 00000000BD94: D86C6920 42000004
	ds_read_b32 v67, v4 offset:31264                           // 00000000BD9C: D86C7A20 43000004
	ds_read_b32 v68, v4 offset:26944                           // 00000000BDA4: D86C6940 44000004
	ds_read_b32 v69, v4 offset:31296                           // 00000000BDAC: D86C7A40 45000004
	ds_read_b32 v70, v4 offset:26976                           // 00000000BDB4: D86C6960 46000004
	ds_read_b32 v71, v4 offset:31328                           // 00000000BDBC: D86C7A60 47000004
	ds_read_b32 v72, v4 offset:35584                           // 00000000BDC4: D86C8B00 48000004
	ds_read_b32 v73, v4 offset:39936                           // 00000000BDCC: D86C9C00 49000004
	ds_read_b32 v74, v4 offset:35616                           // 00000000BDD4: D86C8B20 4A000004
	ds_read_b32 v75, v4 offset:39968                           // 00000000BDDC: D86C9C20 4B000004
	ds_read_b32 v76, v4 offset:35648                           // 00000000BDE4: D86C8B40 4C000004
	ds_read_b32 v77, v4 offset:40000                           // 00000000BDEC: D86C9C40 4D000004
	ds_read_b32 v78, v4 offset:35680                           // 00000000BDF4: D86C8B60 4E000004
	ds_read_b32 v79, v4 offset:40032                           // 00000000BDFC: D86C9C60 4F000004
	s_waitcnt lgkmcnt(0)                                       // 00000000BE04: BF8CC07F
	s_mov_b64 exec, s[20:21]                                   // 00000000BE08: BEFE0114
	global_atomic_pk_add_bf16 v80, v64, s[8:9]                 // 00000000BE0C: DD488000 00084050
	s_mov_b64 exec, s[36:37]                                   // 00000000BE14: BEFE0124
	s_mov_b64 exec, s[20:21]                                   // 00000000BE18: BEFE0114
	global_atomic_pk_add_bf16 v80, v65, s[8:9] offset:256      // 00000000BE1C: DD488100 00084150
	s_mov_b64 exec, s[36:37]                                   // 00000000BE24: BEFE0124
	s_mov_b64 exec, s[22:23]                                   // 00000000BE28: BEFE0116
	global_atomic_pk_add_bf16 v82, v66, s[8:9]                 // 00000000BE2C: DD488000 00084252
	s_mov_b64 exec, s[36:37]                                   // 00000000BE34: BEFE0124
	s_mov_b64 exec, s[22:23]                                   // 00000000BE38: BEFE0116
	global_atomic_pk_add_bf16 v82, v67, s[8:9] offset:256      // 00000000BE3C: DD488100 00084352
	s_mov_b64 exec, s[36:37]                                   // 00000000BE44: BEFE0124
	s_mov_b64 exec, s[24:25]                                   // 00000000BE48: BEFE0118
	global_atomic_pk_add_bf16 v84, v68, s[8:9]                 // 00000000BE4C: DD488000 00084454
	s_mov_b64 exec, s[36:37]                                   // 00000000BE54: BEFE0124
	s_mov_b64 exec, s[24:25]                                   // 00000000BE58: BEFE0118
	global_atomic_pk_add_bf16 v84, v69, s[8:9] offset:256      // 00000000BE5C: DD488100 00084554
	s_mov_b64 exec, s[36:37]                                   // 00000000BE64: BEFE0124
	s_mov_b64 exec, s[26:27]                                   // 00000000BE68: BEFE011A
	global_atomic_pk_add_bf16 v86, v70, s[8:9]                 // 00000000BE6C: DD488000 00084656
	s_mov_b64 exec, s[36:37]                                   // 00000000BE74: BEFE0124
	s_mov_b64 exec, s[26:27]                                   // 00000000BE78: BEFE011A
	global_atomic_pk_add_bf16 v86, v71, s[8:9] offset:256      // 00000000BE7C: DD488100 00084756
	s_mov_b64 exec, s[36:37]                                   // 00000000BE84: BEFE0124
	s_mov_b64 exec, s[28:29]                                   // 00000000BE88: BEFE011C
	global_atomic_pk_add_bf16 v88, v72, s[8:9]                 // 00000000BE8C: DD488000 00084858
	s_mov_b64 exec, s[36:37]                                   // 00000000BE94: BEFE0124
	s_mov_b64 exec, s[28:29]                                   // 00000000BE98: BEFE011C
	global_atomic_pk_add_bf16 v88, v73, s[8:9] offset:256      // 00000000BE9C: DD488100 00084958
	s_mov_b64 exec, s[36:37]                                   // 00000000BEA4: BEFE0124
	s_mov_b64 exec, s[30:31]                                   // 00000000BEA8: BEFE011E
	global_atomic_pk_add_bf16 v90, v74, s[8:9]                 // 00000000BEAC: DD488000 00084A5A
	s_mov_b64 exec, s[36:37]                                   // 00000000BEB4: BEFE0124
	s_mov_b64 exec, s[30:31]                                   // 00000000BEB8: BEFE011E
	global_atomic_pk_add_bf16 v90, v75, s[8:9] offset:256      // 00000000BEBC: DD488100 00084B5A
	s_mov_b64 exec, s[36:37]                                   // 00000000BEC4: BEFE0124
	s_mov_b64 exec, s[32:33]                                   // 00000000BEC8: BEFE0120
	global_atomic_pk_add_bf16 v92, v76, s[8:9]                 // 00000000BECC: DD488000 00084C5C
	s_mov_b64 exec, s[36:37]                                   // 00000000BED4: BEFE0124
	s_mov_b64 exec, s[32:33]                                   // 00000000BED8: BEFE0120
	global_atomic_pk_add_bf16 v92, v77, s[8:9] offset:256      // 00000000BEDC: DD488100 00084D5C
	s_mov_b64 exec, s[36:37]                                   // 00000000BEE4: BEFE0124
	s_mov_b64 exec, s[34:35]                                   // 00000000BEE8: BEFE0122
	global_atomic_pk_add_bf16 v94, v78, s[8:9]                 // 00000000BEEC: DD488000 00084E5E
	s_mov_b64 exec, s[36:37]                                   // 00000000BEF4: BEFE0124
	s_mov_b64 exec, s[34:35]                                   // 00000000BEF8: BEFE0122
	global_atomic_pk_add_bf16 v94, v79, s[8:9] offset:256      // 00000000BEFC: DD488100 00084F5E
	s_mov_b64 exec, s[36:37]                                   // 00000000BF04: BEFE0124
	s_add_u32 s8, s59, s8                                      // 00000000BF08: 8008083B
	s_addc_u32 s9, 0, s9                                       // 00000000BF0C: 82090980
	s_addk_i32 s80, 0x100                                      // 00000000BF10: B7500100
	s_cmp_lt_i32 s80, s81                                      // 00000000BF14: BF045150
	s_cbranch_scc0 label_2508                                  // 00000000BF18: BF840001
	s_branch label_1815                                        // 00000000BF1C: BF82F30D

000000000000bf20 <label_2508>:
	s_nop 0                                                    // 00000000BF20: BF800000
	s_nop 0                                                    // 00000000BF24: BF800000
	s_branch label_250B                                        // 00000000BF28: BF820000

000000000000bf2c <label_250B>:
	s_waitcnt vmcnt(0) expcnt(0) lgkmcnt(0)                    // 00000000BF2C: BF8C0000
	s_endpgm                                                   // 00000000BF30: BF810000
